;; amdgpu-corpus repo=ROCm/rocFFT kind=compiled arch=gfx1201 opt=O3
	.text
	.amdgcn_target "amdgcn-amd-amdhsa--gfx1201"
	.amdhsa_code_object_version 6
	.protected	fft_rtc_fwd_len1156_factors_17_2_17_2_wgs_204_tpt_68_halfLds_sp_op_CI_CI_unitstride_sbrr_R2C_dirReg ; -- Begin function fft_rtc_fwd_len1156_factors_17_2_17_2_wgs_204_tpt_68_halfLds_sp_op_CI_CI_unitstride_sbrr_R2C_dirReg
	.globl	fft_rtc_fwd_len1156_factors_17_2_17_2_wgs_204_tpt_68_halfLds_sp_op_CI_CI_unitstride_sbrr_R2C_dirReg
	.p2align	8
	.type	fft_rtc_fwd_len1156_factors_17_2_17_2_wgs_204_tpt_68_halfLds_sp_op_CI_CI_unitstride_sbrr_R2C_dirReg,@function
fft_rtc_fwd_len1156_factors_17_2_17_2_wgs_204_tpt_68_halfLds_sp_op_CI_CI_unitstride_sbrr_R2C_dirReg: ; @fft_rtc_fwd_len1156_factors_17_2_17_2_wgs_204_tpt_68_halfLds_sp_op_CI_CI_unitstride_sbrr_R2C_dirReg
; %bb.0:
	s_load_b128 s[8:11], s[0:1], 0x0
	v_mul_u32_u24_e32 v1, 0x3c4, v0
	s_clause 0x1
	s_load_b128 s[4:7], s[0:1], 0x58
	s_load_b128 s[12:15], s[0:1], 0x18
	v_mov_b32_e32 v5, 0
	v_lshrrev_b32_e32 v3, 16, v1
	v_mov_b32_e32 v1, 0
	v_mov_b32_e32 v2, 0
	s_delay_alu instid0(VALU_DEP_3) | instskip(NEXT) | instid1(VALU_DEP_2)
	v_mad_co_u64_u32 v[3:4], null, ttmp9, 3, v[3:4]
	v_dual_mov_b32 v4, v5 :: v_dual_mov_b32 v25, v2
	s_delay_alu instid0(VALU_DEP_1) | instskip(NEXT) | instid1(VALU_DEP_3)
	v_dual_mov_b32 v24, v1 :: v_dual_mov_b32 v29, v4
	v_mov_b32_e32 v28, v3
	s_wait_kmcnt 0x0
	v_cmp_lt_u64_e64 s2, s[10:11], 2
	s_delay_alu instid0(VALU_DEP_1)
	s_and_b32 vcc_lo, exec_lo, s2
	s_cbranch_vccnz .LBB0_8
; %bb.1:
	s_load_b64 s[2:3], s[0:1], 0x10
	v_dual_mov_b32 v1, 0 :: v_dual_mov_b32 v8, v4
	v_dual_mov_b32 v2, 0 :: v_dual_mov_b32 v7, v3
	s_add_nc_u64 s[16:17], s[14:15], 8
	s_add_nc_u64 s[18:19], s[12:13], 8
	s_mov_b64 s[20:21], 1
	s_delay_alu instid0(VALU_DEP_1)
	v_dual_mov_b32 v25, v2 :: v_dual_mov_b32 v24, v1
	s_wait_kmcnt 0x0
	s_add_nc_u64 s[22:23], s[2:3], 8
	s_mov_b32 s3, 0
.LBB0_2:                                ; =>This Inner Loop Header: Depth=1
	s_load_b64 s[24:25], s[22:23], 0x0
                                        ; implicit-def: $vgpr28_vgpr29
	s_mov_b32 s2, exec_lo
	s_wait_kmcnt 0x0
	v_or_b32_e32 v6, s25, v8
	s_delay_alu instid0(VALU_DEP_1)
	v_cmpx_ne_u64_e32 0, v[5:6]
	s_wait_alu 0xfffe
	s_xor_b32 s26, exec_lo, s2
	s_cbranch_execz .LBB0_4
; %bb.3:                                ;   in Loop: Header=BB0_2 Depth=1
	s_cvt_f32_u32 s2, s24
	s_cvt_f32_u32 s27, s25
	s_sub_nc_u64 s[30:31], 0, s[24:25]
	s_wait_alu 0xfffe
	s_delay_alu instid0(SALU_CYCLE_1) | instskip(SKIP_1) | instid1(SALU_CYCLE_2)
	s_fmamk_f32 s2, s27, 0x4f800000, s2
	s_wait_alu 0xfffe
	v_s_rcp_f32 s2, s2
	s_delay_alu instid0(TRANS32_DEP_1) | instskip(SKIP_1) | instid1(SALU_CYCLE_2)
	s_mul_f32 s2, s2, 0x5f7ffffc
	s_wait_alu 0xfffe
	s_mul_f32 s27, s2, 0x2f800000
	s_wait_alu 0xfffe
	s_delay_alu instid0(SALU_CYCLE_2) | instskip(SKIP_1) | instid1(SALU_CYCLE_2)
	s_trunc_f32 s27, s27
	s_wait_alu 0xfffe
	s_fmamk_f32 s2, s27, 0xcf800000, s2
	s_cvt_u32_f32 s29, s27
	s_wait_alu 0xfffe
	s_delay_alu instid0(SALU_CYCLE_1) | instskip(SKIP_1) | instid1(SALU_CYCLE_2)
	s_cvt_u32_f32 s28, s2
	s_wait_alu 0xfffe
	s_mul_u64 s[34:35], s[30:31], s[28:29]
	s_wait_alu 0xfffe
	s_mul_hi_u32 s37, s28, s35
	s_mul_i32 s36, s28, s35
	s_mul_hi_u32 s2, s28, s34
	s_mul_i32 s33, s29, s34
	s_wait_alu 0xfffe
	s_add_nc_u64 s[36:37], s[2:3], s[36:37]
	s_mul_hi_u32 s27, s29, s34
	s_mul_hi_u32 s38, s29, s35
	s_add_co_u32 s2, s36, s33
	s_wait_alu 0xfffe
	s_add_co_ci_u32 s2, s37, s27
	s_mul_i32 s34, s29, s35
	s_add_co_ci_u32 s35, s38, 0
	s_wait_alu 0xfffe
	s_add_nc_u64 s[34:35], s[2:3], s[34:35]
	s_wait_alu 0xfffe
	v_add_co_u32 v4, s2, s28, s34
	s_delay_alu instid0(VALU_DEP_1) | instskip(SKIP_1) | instid1(VALU_DEP_1)
	s_cmp_lg_u32 s2, 0
	s_add_co_ci_u32 s29, s29, s35
	v_readfirstlane_b32 s28, v4
	s_wait_alu 0xfffe
	s_delay_alu instid0(VALU_DEP_1)
	s_mul_u64 s[30:31], s[30:31], s[28:29]
	s_wait_alu 0xfffe
	s_mul_hi_u32 s35, s28, s31
	s_mul_i32 s34, s28, s31
	s_mul_hi_u32 s2, s28, s30
	s_mul_i32 s33, s29, s30
	s_wait_alu 0xfffe
	s_add_nc_u64 s[34:35], s[2:3], s[34:35]
	s_mul_hi_u32 s27, s29, s30
	s_mul_hi_u32 s28, s29, s31
	s_wait_alu 0xfffe
	s_add_co_u32 s2, s34, s33
	s_add_co_ci_u32 s2, s35, s27
	s_mul_i32 s30, s29, s31
	s_add_co_ci_u32 s31, s28, 0
	s_wait_alu 0xfffe
	s_add_nc_u64 s[30:31], s[2:3], s[30:31]
	s_wait_alu 0xfffe
	v_add_co_u32 v4, s2, v4, s30
	s_delay_alu instid0(VALU_DEP_1) | instskip(SKIP_1) | instid1(VALU_DEP_1)
	s_cmp_lg_u32 s2, 0
	s_add_co_ci_u32 s2, s29, s31
	v_mul_hi_u32 v6, v7, v4
	s_wait_alu 0xfffe
	v_mad_co_u64_u32 v[9:10], null, v7, s2, 0
	v_mad_co_u64_u32 v[11:12], null, v8, v4, 0
	;; [unrolled: 1-line block ×3, first 2 shown]
	s_delay_alu instid0(VALU_DEP_3) | instskip(SKIP_1) | instid1(VALU_DEP_4)
	v_add_co_u32 v4, vcc_lo, v6, v9
	s_wait_alu 0xfffd
	v_add_co_ci_u32_e32 v6, vcc_lo, 0, v10, vcc_lo
	s_delay_alu instid0(VALU_DEP_2) | instskip(SKIP_1) | instid1(VALU_DEP_2)
	v_add_co_u32 v4, vcc_lo, v4, v11
	s_wait_alu 0xfffd
	v_add_co_ci_u32_e32 v4, vcc_lo, v6, v12, vcc_lo
	s_wait_alu 0xfffd
	v_add_co_ci_u32_e32 v6, vcc_lo, 0, v14, vcc_lo
	s_delay_alu instid0(VALU_DEP_2) | instskip(SKIP_1) | instid1(VALU_DEP_2)
	v_add_co_u32 v4, vcc_lo, v4, v13
	s_wait_alu 0xfffd
	v_add_co_ci_u32_e32 v6, vcc_lo, 0, v6, vcc_lo
	s_delay_alu instid0(VALU_DEP_2) | instskip(SKIP_1) | instid1(VALU_DEP_3)
	v_mul_lo_u32 v11, s25, v4
	v_mad_co_u64_u32 v[9:10], null, s24, v4, 0
	v_mul_lo_u32 v12, s24, v6
	s_delay_alu instid0(VALU_DEP_2) | instskip(NEXT) | instid1(VALU_DEP_2)
	v_sub_co_u32 v9, vcc_lo, v7, v9
	v_add3_u32 v10, v10, v12, v11
	s_delay_alu instid0(VALU_DEP_1) | instskip(SKIP_1) | instid1(VALU_DEP_1)
	v_sub_nc_u32_e32 v11, v8, v10
	s_wait_alu 0xfffd
	v_subrev_co_ci_u32_e64 v11, s2, s25, v11, vcc_lo
	v_add_co_u32 v12, s2, v4, 2
	s_wait_alu 0xf1ff
	v_add_co_ci_u32_e64 v13, s2, 0, v6, s2
	v_sub_co_u32 v14, s2, v9, s24
	v_sub_co_ci_u32_e32 v10, vcc_lo, v8, v10, vcc_lo
	s_wait_alu 0xf1ff
	v_subrev_co_ci_u32_e64 v11, s2, 0, v11, s2
	s_delay_alu instid0(VALU_DEP_3) | instskip(NEXT) | instid1(VALU_DEP_3)
	v_cmp_le_u32_e32 vcc_lo, s24, v14
	v_cmp_eq_u32_e64 s2, s25, v10
	s_wait_alu 0xfffd
	v_cndmask_b32_e64 v14, 0, -1, vcc_lo
	v_cmp_le_u32_e32 vcc_lo, s25, v11
	s_wait_alu 0xfffd
	v_cndmask_b32_e64 v15, 0, -1, vcc_lo
	v_cmp_le_u32_e32 vcc_lo, s24, v9
	;; [unrolled: 3-line block ×3, first 2 shown]
	s_wait_alu 0xfffd
	v_cndmask_b32_e64 v16, 0, -1, vcc_lo
	v_cmp_eq_u32_e32 vcc_lo, s25, v11
	s_wait_alu 0xf1ff
	s_delay_alu instid0(VALU_DEP_2)
	v_cndmask_b32_e64 v9, v16, v9, s2
	s_wait_alu 0xfffd
	v_cndmask_b32_e32 v11, v15, v14, vcc_lo
	v_add_co_u32 v14, vcc_lo, v4, 1
	s_wait_alu 0xfffd
	v_add_co_ci_u32_e32 v15, vcc_lo, 0, v6, vcc_lo
	s_delay_alu instid0(VALU_DEP_3) | instskip(SKIP_1) | instid1(VALU_DEP_2)
	v_cmp_ne_u32_e32 vcc_lo, 0, v11
	s_wait_alu 0xfffd
	v_dual_cndmask_b32 v10, v15, v13 :: v_dual_cndmask_b32 v11, v14, v12
	v_cmp_ne_u32_e32 vcc_lo, 0, v9
	s_wait_alu 0xfffd
	s_delay_alu instid0(VALU_DEP_2)
	v_dual_cndmask_b32 v29, v6, v10 :: v_dual_cndmask_b32 v28, v4, v11
.LBB0_4:                                ;   in Loop: Header=BB0_2 Depth=1
	s_wait_alu 0xfffe
	s_and_not1_saveexec_b32 s2, s26
	s_cbranch_execz .LBB0_6
; %bb.5:                                ;   in Loop: Header=BB0_2 Depth=1
	v_cvt_f32_u32_e32 v4, s24
	s_sub_co_i32 s26, 0, s24
	v_mov_b32_e32 v29, v5
	s_delay_alu instid0(VALU_DEP_2) | instskip(NEXT) | instid1(TRANS32_DEP_1)
	v_rcp_iflag_f32_e32 v4, v4
	v_mul_f32_e32 v4, 0x4f7ffffe, v4
	s_delay_alu instid0(VALU_DEP_1) | instskip(SKIP_1) | instid1(VALU_DEP_1)
	v_cvt_u32_f32_e32 v4, v4
	s_wait_alu 0xfffe
	v_mul_lo_u32 v6, s26, v4
	s_delay_alu instid0(VALU_DEP_1) | instskip(NEXT) | instid1(VALU_DEP_1)
	v_mul_hi_u32 v6, v4, v6
	v_add_nc_u32_e32 v4, v4, v6
	s_delay_alu instid0(VALU_DEP_1) | instskip(NEXT) | instid1(VALU_DEP_1)
	v_mul_hi_u32 v4, v7, v4
	v_mul_lo_u32 v6, v4, s24
	s_delay_alu instid0(VALU_DEP_1) | instskip(NEXT) | instid1(VALU_DEP_1)
	v_sub_nc_u32_e32 v6, v7, v6
	v_subrev_nc_u32_e32 v10, s24, v6
	v_cmp_le_u32_e32 vcc_lo, s24, v6
	s_wait_alu 0xfffd
	s_delay_alu instid0(VALU_DEP_2) | instskip(NEXT) | instid1(VALU_DEP_1)
	v_dual_cndmask_b32 v6, v6, v10 :: v_dual_add_nc_u32 v9, 1, v4
	v_cndmask_b32_e32 v4, v4, v9, vcc_lo
	s_delay_alu instid0(VALU_DEP_2) | instskip(NEXT) | instid1(VALU_DEP_2)
	v_cmp_le_u32_e32 vcc_lo, s24, v6
	v_add_nc_u32_e32 v9, 1, v4
	s_wait_alu 0xfffd
	s_delay_alu instid0(VALU_DEP_1)
	v_cndmask_b32_e32 v28, v4, v9, vcc_lo
.LBB0_6:                                ;   in Loop: Header=BB0_2 Depth=1
	s_wait_alu 0xfffe
	s_or_b32 exec_lo, exec_lo, s2
	v_mul_lo_u32 v4, v29, s24
	s_delay_alu instid0(VALU_DEP_2)
	v_mul_lo_u32 v6, v28, s25
	s_load_b64 s[26:27], s[18:19], 0x0
	v_mad_co_u64_u32 v[9:10], null, v28, s24, 0
	s_load_b64 s[24:25], s[16:17], 0x0
	s_add_nc_u64 s[20:21], s[20:21], 1
	s_add_nc_u64 s[16:17], s[16:17], 8
	s_wait_alu 0xfffe
	v_cmp_ge_u64_e64 s2, s[20:21], s[10:11]
	s_add_nc_u64 s[18:19], s[18:19], 8
	s_add_nc_u64 s[22:23], s[22:23], 8
	v_add3_u32 v4, v10, v6, v4
	v_sub_co_u32 v6, vcc_lo, v7, v9
	s_wait_alu 0xfffd
	s_delay_alu instid0(VALU_DEP_2) | instskip(SKIP_2) | instid1(VALU_DEP_1)
	v_sub_co_ci_u32_e32 v4, vcc_lo, v8, v4, vcc_lo
	s_and_b32 vcc_lo, exec_lo, s2
	s_wait_kmcnt 0x0
	v_mul_lo_u32 v7, s26, v4
	v_mul_lo_u32 v8, s27, v6
	v_mad_co_u64_u32 v[1:2], null, s26, v6, v[1:2]
	v_mul_lo_u32 v4, s24, v4
	v_mul_lo_u32 v9, s25, v6
	v_mad_co_u64_u32 v[24:25], null, s24, v6, v[24:25]
	s_delay_alu instid0(VALU_DEP_4) | instskip(NEXT) | instid1(VALU_DEP_2)
	v_add3_u32 v2, v8, v2, v7
	v_add3_u32 v25, v9, v25, v4
	s_wait_alu 0xfffe
	s_cbranch_vccnz .LBB0_8
; %bb.7:                                ;   in Loop: Header=BB0_2 Depth=1
	v_dual_mov_b32 v7, v28 :: v_dual_mov_b32 v8, v29
	s_branch .LBB0_2
.LBB0_8:
	s_load_b64 s[0:1], s[0:1], 0x28
	v_mul_hi_u32 v4, 0xaaaaaaab, v3
	s_lshl_b64 s[10:11], s[10:11], 3
                                        ; implicit-def: $vgpr26
                                        ; implicit-def: $vgpr37
                                        ; implicit-def: $vgpr39
                                        ; implicit-def: $vgpr35
                                        ; implicit-def: $vgpr34
                                        ; implicit-def: $vgpr33
                                        ; implicit-def: $vgpr32
                                        ; implicit-def: $vgpr31
                                        ; implicit-def: $vgpr30
	s_delay_alu instid0(VALU_DEP_1) | instskip(NEXT) | instid1(VALU_DEP_1)
	v_lshrrev_b32_e32 v4, 1, v4
	v_lshl_add_u32 v5, v4, 1, v4
	v_mul_hi_u32 v4, 0x3c3c3c4, v0
	s_delay_alu instid0(VALU_DEP_2) | instskip(SKIP_3) | instid1(VALU_DEP_1)
	v_sub_nc_u32_e32 v3, v3, v5
	s_wait_kmcnt 0x0
	v_cmp_gt_u64_e32 vcc_lo, s[0:1], v[28:29]
	v_cmp_le_u64_e64 s0, s[0:1], v[28:29]
	s_and_saveexec_b32 s1, s0
	s_wait_alu 0xfffe
	s_xor_b32 s0, exec_lo, s1
; %bb.9:
	v_mul_u32_u24_e32 v1, 0x44, v4
                                        ; implicit-def: $vgpr4
	s_delay_alu instid0(VALU_DEP_1) | instskip(NEXT) | instid1(VALU_DEP_1)
	v_sub_nc_u32_e32 v26, v0, v1
                                        ; implicit-def: $vgpr0
                                        ; implicit-def: $vgpr1_vgpr2
	v_add_nc_u32_e32 v37, 0x44, v26
	v_add_nc_u32_e32 v39, 0x88, v26
	;; [unrolled: 1-line block ×8, first 2 shown]
; %bb.10:
	s_wait_alu 0xfffe
	s_or_saveexec_b32 s1, s0
	v_mul_u32_u24_e32 v3, 0x485, v3
	s_add_nc_u64 s[2:3], s[14:15], s[10:11]
	s_delay_alu instid0(VALU_DEP_1)
	v_lshlrev_b32_e32 v27, 3, v3
	s_wait_alu 0xfffe
	s_xor_b32 exec_lo, exec_lo, s1
	s_cbranch_execz .LBB0_12
; %bb.11:
	s_add_nc_u64 s[10:11], s[12:13], s[10:11]
	v_lshlrev_b64_e32 v[1:2], 3, v[1:2]
	s_load_b64 s[10:11], s[10:11], 0x0
	s_wait_kmcnt 0x0
	v_mul_lo_u32 v3, s11, v28
	v_mul_lo_u32 v7, s10, v29
	v_mad_co_u64_u32 v[5:6], null, s10, v28, 0
	s_delay_alu instid0(VALU_DEP_1) | instskip(SKIP_1) | instid1(VALU_DEP_2)
	v_add3_u32 v6, v6, v7, v3
	v_mul_u32_u24_e32 v7, 0x44, v4
	v_lshlrev_b64_e32 v[3:4], 3, v[5:6]
	s_delay_alu instid0(VALU_DEP_2) | instskip(NEXT) | instid1(VALU_DEP_1)
	v_sub_nc_u32_e32 v26, v0, v7
	v_lshlrev_b32_e32 v30, 3, v26
	s_delay_alu instid0(VALU_DEP_3) | instskip(SKIP_1) | instid1(VALU_DEP_4)
	v_add_co_u32 v0, s0, s4, v3
	s_wait_alu 0xf1ff
	v_add_co_ci_u32_e64 v3, s0, s5, v4, s0
	s_delay_alu instid0(VALU_DEP_3) | instskip(NEXT) | instid1(VALU_DEP_3)
	v_add3_u32 v36, 0, v27, v30
	v_add_co_u32 v0, s0, v0, v1
	s_wait_alu 0xf1ff
	s_delay_alu instid0(VALU_DEP_3) | instskip(SKIP_1) | instid1(VALU_DEP_3)
	v_add_co_ci_u32_e64 v1, s0, v3, v2, s0
	v_add_nc_u32_e32 v37, 0x44, v26
	v_add_co_u32 v0, s0, v0, v30
	s_wait_alu 0xf1ff
	s_delay_alu instid0(VALU_DEP_3)
	v_add_co_ci_u32_e64 v1, s0, 0, v1, s0
	s_clause 0x10
	global_load_b64 v[2:3], v[0:1], off
	global_load_b64 v[4:5], v[0:1], off offset:544
	global_load_b64 v[6:7], v[0:1], off offset:1088
	;; [unrolled: 1-line block ×16, first 2 shown]
	v_add_nc_u32_e32 v39, 0x88, v26
	v_add_nc_u32_e32 v35, 0xcc, v26
	;; [unrolled: 1-line block ×10, first 2 shown]
	s_wait_loadcnt 0xf
	ds_store_2addr_b64 v36, v[2:3], v[4:5] offset1:68
	s_wait_loadcnt 0xd
	ds_store_2addr_b64 v36, v[6:7], v[8:9] offset0:136 offset1:204
	s_wait_loadcnt 0xb
	ds_store_2addr_b64 v38, v[10:11], v[12:13] offset0:16 offset1:84
	;; [unrolled: 2-line block ×7, first 2 shown]
	s_wait_loadcnt 0x0
	ds_store_b64 v36, v[0:1] offset:8704
.LBB0_12:
	s_or_b32 exec_lo, exec_lo, s1
	v_add_nc_u32_e32 v63, 0, v27
	v_lshlrev_b32_e32 v65, 3, v26
	s_load_b64 s[2:3], s[2:3], 0x0
	global_wb scope:SCOPE_SE
	s_wait_dscnt 0x0
	s_wait_kmcnt 0x0
	s_barrier_signal -1
	s_barrier_wait -1
	v_add_nc_u32_e32 v64, v63, v65
	v_add3_u32 v66, 0, v65, v27
	global_inv scope:SCOPE_SE
	v_cmp_gt_u32_e64 s0, 34, v26
	ds_load_b64 v[52:53], v64
	ds_load_2addr_b64 v[44:47], v66 offset0:68 offset1:136
	v_add_nc_u32_e32 v36, 0x1c00, v66
	s_wait_dscnt 0x0
	v_dual_add_f32 v41, v53, v45 :: v_dual_add_nc_u32 v0, 0x400, v66
	ds_load_2addr_b64 v[48:51], v36 offset0:124 offset1:192
	ds_load_2addr_b64 v[16:19], v0 offset0:76 offset1:144
	v_add_f32_e32 v40, v52, v44
	v_dual_add_f32 v41, v41, v47 :: v_dual_add_nc_u32 v0, 0x800, v66
	v_add_nc_u32_e32 v42, 0x1400, v66
	s_wait_dscnt 0x0
	s_delay_alu instid0(VALU_DEP_2) | instskip(SKIP_3) | instid1(VALU_DEP_4)
	v_dual_add_f32 v54, v50, v44 :: v_dual_add_f32 v41, v41, v17
	v_dual_sub_f32 v55, v45, v51 :: v_dual_add_nc_u32 v38, 0x1800, v66
	v_add_f32_e32 v45, v51, v45
	v_add_f32_e32 v81, v49, v47
	v_dual_add_f32 v41, v41, v19 :: v_dual_sub_f32 v44, v44, v50
	v_dual_add_f32 v40, v40, v46 :: v_dual_sub_f32 v47, v47, v49
	s_delay_alu instid0(VALU_DEP_2) | instskip(NEXT) | instid1(VALU_DEP_2)
	v_mul_f32_e32 v57, 0xbeb8f4ab, v44
	v_dual_add_f32 v40, v40, v16 :: v_dual_add_nc_u32 v1, 0xc00, v66
	ds_load_2addr_b64 v[8:11], v0 offset0:84 offset1:152
	ds_load_2addr_b64 v[0:3], v1 offset0:92 offset1:160
	v_mul_f32_e32 v87, 0xbf2c7751, v47
	s_wait_dscnt 0x1
	v_dual_add_f32 v41, v41, v9 :: v_dual_add_f32 v40, v40, v18
	v_dual_mul_f32 v58, 0xbf2c7751, v55 :: v_dual_mul_f32 v59, 0xbf2c7751, v44
	v_dual_mul_f32 v60, 0xbf65296c, v55 :: v_dual_mul_f32 v61, 0xbf65296c, v44
	s_delay_alu instid0(VALU_DEP_3) | instskip(NEXT) | instid1(VALU_DEP_4)
	v_add_f32_e32 v41, v41, v11
	v_dual_add_f32 v40, v40, v8 :: v_dual_add_nc_u32 v43, 0x1000, v66
	ds_load_2addr_b64 v[4:7], v43 offset0:100 offset1:168
	ds_load_2addr_b64 v[12:15], v42 offset0:108 offset1:176
	ds_load_2addr_b64 v[20:23], v38 offset0:116 offset1:184
	s_wait_dscnt 0x3
	v_dual_mul_f32 v56, 0xbeb8f4ab, v55 :: v_dual_add_f32 v41, v41, v1
	v_fma_f32 v73, 0x3f3d2fb0, v54, -v58
	v_fmamk_f32 v74, v45, 0x3f3d2fb0, v59
	v_fma_f32 v59, 0x3f3d2fb0, v45, -v59
	s_delay_alu instid0(VALU_DEP_4) | instskip(SKIP_2) | instid1(VALU_DEP_3)
	v_fma_f32 v71, 0x3f6eb680, v54, -v56
	v_dual_fmac_f32 v56, 0x3f6eb680, v54 :: v_dual_add_f32 v41, v41, v3
	v_mul_f32_e32 v70, 0xbf4c4adb, v55
	v_dual_fmamk_f32 v72, v45, 0x3f6eb680, v57 :: v_dual_add_f32 v71, v52, v71
	v_fma_f32 v57, 0x3f6eb680, v45, -v57
	v_dual_mul_f32 v62, 0xbf7ee86f, v55 :: v_dual_mul_f32 v67, 0xbf7ee86f, v44
	v_fma_f32 v75, 0x3ee437d1, v54, -v60
	v_fmamk_f32 v76, v45, 0x3ee437d1, v61
	s_delay_alu instid0(VALU_DEP_4)
	v_add_f32_e32 v57, v53, v57
	s_wait_dscnt 0x2
	v_dual_add_f32 v41, v41, v5 :: v_dual_add_f32 v40, v40, v10
	v_fma_f32 v61, 0x3ee437d1, v45, -v61
	v_add_f32_e32 v59, v53, v59
	v_fma_f32 v77, 0x3dbcf732, v54, -v62
	s_delay_alu instid0(VALU_DEP_4) | instskip(NEXT) | instid1(VALU_DEP_4)
	v_dual_add_f32 v41, v41, v7 :: v_dual_add_f32 v40, v40, v0
	v_dual_fmac_f32 v58, 0x3f3d2fb0, v54 :: v_dual_add_f32 v61, v53, v61
	v_dual_mul_f32 v68, 0xbf763a35, v55 :: v_dual_mul_f32 v69, 0xbf763a35, v44
	s_wait_dscnt 0x1
	s_delay_alu instid0(VALU_DEP_3) | instskip(SKIP_1) | instid1(VALU_DEP_3)
	v_dual_add_f32 v41, v41, v13 :: v_dual_add_f32 v40, v40, v2
	v_mul_f32_e32 v83, 0xbf06c442, v44
	v_fma_f32 v79, 0xbe8c1d8e, v54, -v68
	v_dual_fmamk_f32 v78, v45, 0x3dbcf732, v67 :: v_dual_add_f32 v77, v52, v77
	s_delay_alu instid0(VALU_DEP_4) | instskip(SKIP_3) | instid1(VALU_DEP_3)
	v_dual_add_f32 v41, v41, v15 :: v_dual_add_f32 v40, v40, v4
	v_fmac_f32_e32 v60, 0x3ee437d1, v54
	v_fmamk_f32 v80, v45, 0xbe8c1d8e, v69
	s_wait_dscnt 0x0
	v_dual_fmac_f32 v68, 0xbe8c1d8e, v54 :: v_dual_add_f32 v41, v41, v21
	v_add_f32_e32 v40, v40, v6
	v_fmac_f32_e32 v62, 0x3dbcf732, v54
	v_fma_f32 v69, 0xbe8c1d8e, v45, -v69
	v_add_f32_e32 v73, v52, v73
	s_delay_alu instid0(VALU_DEP_4) | instskip(SKIP_3) | instid1(VALU_DEP_4)
	v_dual_add_f32 v41, v41, v23 :: v_dual_add_f32 v40, v40, v12
	v_add_f32_e32 v74, v53, v74
	v_add_f32_e32 v58, v52, v58
	;; [unrolled: 1-line block ×3, first 2 shown]
	v_dual_add_f32 v41, v41, v49 :: v_dual_add_f32 v40, v40, v14
	v_add_f32_e32 v76, v53, v76
	v_dual_add_f32 v60, v52, v60 :: v_dual_fmamk_f32 v85, v45, 0xbf59a7d5, v83
	s_delay_alu instid0(VALU_DEP_3) | instskip(SKIP_3) | instid1(VALU_DEP_4)
	v_dual_add_f32 v41, v41, v51 :: v_dual_add_f32 v40, v40, v20
	v_add_f32_e32 v78, v53, v78
	v_add_f32_e32 v51, v53, v80
	v_dual_add_f32 v49, v52, v68 :: v_dual_add_f32 v68, v53, v69
	v_add_f32_e32 v40, v40, v22
	v_fma_f32 v83, 0xbf59a7d5, v45, -v83
	v_add_f32_e32 v80, v48, v46
	v_fma_f32 v67, 0x3dbcf732, v45, -v67
	v_add_f32_e32 v56, v52, v56
	s_delay_alu instid0(VALU_DEP_4) | instskip(NEXT) | instid1(VALU_DEP_4)
	v_dual_add_f32 v40, v40, v48 :: v_dual_add_f32 v83, v53, v83
	v_fma_f32 v88, 0x3f3d2fb0, v80, -v87
	v_dual_add_f32 v62, v52, v62 :: v_dual_add_f32 v85, v53, v85
	s_delay_alu instid0(VALU_DEP_3)
	v_add_f32_e32 v40, v40, v50
	v_add_f32_e32 v50, v52, v79
	v_fma_f32 v79, 0xbf1a4643, v54, -v70
	v_add_f32_e32 v72, v53, v72
	v_add_f32_e32 v67, v53, v67
	global_wb scope:SCOPE_SE
	s_barrier_signal -1
	v_add_f32_e32 v69, v52, v79
	v_mul_f32_e32 v79, 0xbf06c442, v55
	v_mul_f32_e32 v55, 0xbe3c28d5, v55
	v_fmac_f32_e32 v70, 0xbf1a4643, v54
	v_fmac_f32_e32 v87, 0x3f3d2fb0, v80
	s_barrier_wait -1
	v_fma_f32 v84, 0xbf59a7d5, v54, -v79
	v_fma_f32 v86, 0xbf7ba420, v54, -v55
	v_sub_f32_e32 v46, v46, v48
	v_mul_f32_e32 v48, 0xbf4c4adb, v44
	v_mul_f32_e32 v44, 0xbe3c28d5, v44
	v_fmac_f32_e32 v79, 0xbf59a7d5, v54
	v_dual_fmac_f32 v55, 0xbf7ba420, v54 :: v_dual_add_f32 v56, v87, v56
	s_delay_alu instid0(VALU_DEP_4)
	v_fmamk_f32 v82, v45, 0xbf1a4643, v48
	v_fma_f32 v48, 0xbf1a4643, v45, -v48
	v_fmamk_f32 v54, v45, 0xbf7ba420, v44
	v_fma_f32 v44, 0xbf7ba420, v45, -v44
	v_add_f32_e32 v45, v52, v86
	v_mul_f32_e32 v86, 0xbf2c7751, v46
	v_add_f32_e32 v82, v53, v82
	v_add_f32_e32 v48, v53, v48
	;; [unrolled: 1-line block ×5, first 2 shown]
	v_fmamk_f32 v53, v81, 0x3f3d2fb0, v86
	v_add_f32_e32 v79, v52, v79
	v_fma_f32 v86, 0x3f3d2fb0, v81, -v86
	global_inv scope:SCOPE_SE
	v_dual_add_f32 v53, v53, v72 :: v_dual_mul_f32 v72, 0xbf7ee86f, v46
	v_add_f32_e32 v70, v52, v70
	v_add_f32_e32 v52, v52, v55
	;; [unrolled: 1-line block ×3, first 2 shown]
	v_mul_f32_e32 v71, 0xbf7ee86f, v47
	v_dual_add_f32 v57, v86, v57 :: v_dual_mul_f32 v86, 0xbf4c4adb, v47
	v_fmamk_f32 v87, v81, 0x3dbcf732, v72
	v_fma_f32 v72, 0x3dbcf732, v81, -v72
	s_delay_alu instid0(VALU_DEP_4) | instskip(NEXT) | instid1(VALU_DEP_3)
	v_fma_f32 v88, 0x3dbcf732, v80, -v71
	v_dual_fmac_f32 v71, 0x3dbcf732, v80 :: v_dual_add_f32 v74, v87, v74
	v_mul_f32_e32 v87, 0xbf4c4adb, v46
	s_delay_alu instid0(VALU_DEP_3) | instskip(SKIP_1) | instid1(VALU_DEP_4)
	v_add_f32_e32 v73, v88, v73
	v_fma_f32 v88, 0xbf1a4643, v80, -v86
	v_dual_add_f32 v58, v71, v58 :: v_dual_add_f32 v59, v72, v59
	v_mul_f32_e32 v72, 0xbe3c28d5, v47
	s_delay_alu instid0(VALU_DEP_3)
	v_add_f32_e32 v71, v88, v75
	v_fmamk_f32 v75, v81, 0xbf1a4643, v87
	v_fma_f32 v87, 0xbf1a4643, v81, -v87
	v_mul_f32_e32 v88, 0xbe3c28d5, v46
	v_fma_f32 v89, 0xbf7ba420, v80, -v72
	v_fmac_f32_e32 v72, 0xbf7ba420, v80
	v_add_f32_e32 v75, v75, v76
	v_add_f32_e32 v61, v87, v61
	v_fma_f32 v87, 0xbf7ba420, v81, -v88
	v_fmac_f32_e32 v86, 0xbf1a4643, v80
	v_fmamk_f32 v76, v81, 0xbf7ba420, v88
	v_add_f32_e32 v62, v72, v62
	v_mul_f32_e32 v72, 0x3f763a35, v47
	s_delay_alu instid0(VALU_DEP_4) | instskip(SKIP_1) | instid1(VALU_DEP_1)
	v_dual_add_f32 v67, v87, v67 :: v_dual_add_f32 v60, v86, v60
	v_dual_mul_f32 v86, 0x3f06c442, v47 :: v_dual_add_f32 v77, v89, v77
	v_fma_f32 v88, 0xbf59a7d5, v80, -v86
	s_delay_alu instid0(VALU_DEP_1) | instskip(SKIP_1) | instid1(VALU_DEP_1)
	v_add_f32_e32 v50, v88, v50
	v_fma_f32 v88, 0xbe8c1d8e, v80, -v72
	v_dual_fmac_f32 v72, 0xbe8c1d8e, v80 :: v_dual_add_f32 v69, v88, v69
	v_mul_f32_e32 v88, 0x3f65296c, v46
	s_delay_alu instid0(VALU_DEP_2) | instskip(NEXT) | instid1(VALU_DEP_2)
	v_add_f32_e32 v70, v72, v70
	v_fmamk_f32 v72, v81, 0x3ee437d1, v88
	s_delay_alu instid0(VALU_DEP_1) | instskip(SKIP_1) | instid1(VALU_DEP_1)
	v_add_f32_e32 v72, v72, v85
	v_fma_f32 v85, 0x3ee437d1, v81, -v88
	v_add_f32_e32 v83, v85, v83
	v_dual_add_f32 v85, v22, v16 :: v_dual_add_f32 v76, v76, v78
	v_mul_f32_e32 v78, 0x3f06c442, v46
	s_delay_alu instid0(VALU_DEP_1) | instskip(SKIP_1) | instid1(VALU_DEP_1)
	v_fmamk_f32 v87, v81, 0xbf59a7d5, v78
	v_fma_f32 v78, 0xbf59a7d5, v81, -v78
	v_dual_add_f32 v51, v87, v51 :: v_dual_add_f32 v68, v78, v68
	v_mul_f32_e32 v78, 0x3f65296c, v47
	v_mul_f32_e32 v87, 0x3f763a35, v46
	v_dual_mul_f32 v47, 0x3eb8f4ab, v47 :: v_dual_mul_f32 v46, 0x3eb8f4ab, v46
	s_delay_alu instid0(VALU_DEP_3) | instskip(SKIP_1) | instid1(VALU_DEP_1)
	v_fma_f32 v89, 0x3ee437d1, v80, -v78
	v_fmac_f32_e32 v78, 0x3ee437d1, v80
	v_add_f32_e32 v78, v78, v79
	v_sub_f32_e32 v79, v17, v23
	v_dual_add_f32 v17, v23, v17 :: v_dual_fmac_f32 v86, 0xbf59a7d5, v80
	v_sub_f32_e32 v16, v16, v22
	v_fma_f32 v22, 0x3f6eb680, v81, -v46
	s_delay_alu instid0(VALU_DEP_3) | instskip(SKIP_2) | instid1(VALU_DEP_4)
	v_dual_add_f32 v84, v89, v84 :: v_dual_add_f32 v49, v86, v49
	v_fmamk_f32 v86, v81, 0xbe8c1d8e, v87
	v_fma_f32 v87, 0xbe8c1d8e, v81, -v87
	v_add_f32_e32 v22, v22, v44
	s_delay_alu instid0(VALU_DEP_3) | instskip(SKIP_3) | instid1(VALU_DEP_3)
	v_add_f32_e32 v82, v86, v82
	v_fma_f32 v86, 0x3f6eb680, v80, -v47
	v_fmac_f32_e32 v47, 0x3f6eb680, v80
	v_dual_add_f32 v48, v87, v48 :: v_dual_fmamk_f32 v87, v81, 0x3f6eb680, v46
	v_dual_mul_f32 v46, 0xbf65296c, v16 :: v_dual_add_f32 v45, v86, v45
	s_delay_alu instid0(VALU_DEP_3) | instskip(SKIP_1) | instid1(VALU_DEP_3)
	v_dual_mul_f32 v86, 0xbf65296c, v79 :: v_dual_add_f32 v47, v47, v52
	v_mul_f32_e32 v52, 0xbf4c4adb, v79
	v_fmamk_f32 v44, v17, 0x3ee437d1, v46
	v_fma_f32 v46, 0x3ee437d1, v17, -v46
	s_delay_alu instid0(VALU_DEP_4) | instskip(SKIP_1) | instid1(VALU_DEP_4)
	v_fma_f32 v23, 0x3ee437d1, v85, -v86
	v_mul_f32_e32 v80, 0x3e3c28d5, v79
	v_dual_mul_f32 v81, 0x3f763a35, v16 :: v_dual_add_f32 v44, v44, v53
	v_fma_f32 v53, 0xbf1a4643, v85, -v52
	s_delay_alu instid0(VALU_DEP_4) | instskip(SKIP_2) | instid1(VALU_DEP_4)
	v_add_f32_e32 v23, v23, v55
	v_dual_mul_f32 v55, 0xbf4c4adb, v16 :: v_dual_add_f32 v46, v46, v57
	v_fmac_f32_e32 v52, 0xbf1a4643, v85
	v_add_f32_e32 v53, v53, v73
	v_fma_f32 v73, 0xbf7ba420, v85, -v80
	s_delay_alu instid0(VALU_DEP_4) | instskip(SKIP_3) | instid1(VALU_DEP_4)
	v_fmamk_f32 v57, v17, 0xbf1a4643, v55
	v_fma_f32 v55, 0xbf1a4643, v17, -v55
	v_add_f32_e32 v52, v52, v58
	v_mul_f32_e32 v58, 0x3f763a35, v79
	v_dual_fmac_f32 v80, 0xbf7ba420, v85 :: v_dual_add_f32 v57, v57, v74
	s_delay_alu instid0(VALU_DEP_4) | instskip(SKIP_1) | instid1(VALU_DEP_2)
	v_dual_mul_f32 v74, 0x3e3c28d5, v16 :: v_dual_add_f32 v55, v55, v59
	v_add_f32_e32 v59, v73, v71
	v_fmamk_f32 v71, v17, 0xbf7ba420, v74
	v_fma_f32 v73, 0xbf7ba420, v17, -v74
	v_fma_f32 v74, 0xbe8c1d8e, v85, -v58
	s_delay_alu instid0(VALU_DEP_3) | instskip(NEXT) | instid1(VALU_DEP_3)
	v_dual_fmac_f32 v58, 0xbe8c1d8e, v85 :: v_dual_add_f32 v71, v71, v75
	v_add_f32_e32 v61, v73, v61
	s_delay_alu instid0(VALU_DEP_3) | instskip(SKIP_4) | instid1(VALU_DEP_4)
	v_add_f32_e32 v73, v74, v77
	v_fma_f32 v77, 0xbe8c1d8e, v17, -v81
	v_fmamk_f32 v74, v17, 0xbe8c1d8e, v81
	v_dual_add_f32 v58, v58, v62 :: v_dual_mul_f32 v75, 0x3f2c7751, v79
	v_add_f32_e32 v54, v87, v54
	v_add_f32_e32 v62, v77, v67
	v_mul_f32_e32 v77, 0xbeb8f4ab, v79
	v_mul_f32_e32 v81, 0xbf7ee86f, v16
	v_add_f32_e32 v60, v80, v60
	v_mul_f32_e32 v80, 0x3f2c7751, v16
	v_add_f32_e32 v74, v74, v76
	v_fma_f32 v76, 0x3f3d2fb0, v85, -v75
	v_fmac_f32_e32 v75, 0x3f3d2fb0, v85
	s_delay_alu instid0(VALU_DEP_2) | instskip(NEXT) | instid1(VALU_DEP_2)
	v_dual_fmamk_f32 v67, v17, 0x3f3d2fb0, v80 :: v_dual_add_f32 v50, v76, v50
	v_add_f32_e32 v49, v75, v49
	v_mul_f32_e32 v75, 0xbf7ee86f, v79
	s_delay_alu instid0(VALU_DEP_3)
	v_add_f32_e32 v51, v67, v51
	v_fma_f32 v67, 0x3f6eb680, v85, -v77
	v_fmac_f32_e32 v77, 0x3f6eb680, v85
	v_mul_f32_e32 v79, 0xbf06c442, v79
	v_fma_f32 v76, 0x3f3d2fb0, v17, -v80
	v_mul_f32_e32 v80, 0xbeb8f4ab, v16
	v_fmac_f32_e32 v86, 0x3ee437d1, v85
	v_add_f32_e32 v70, v77, v70
	v_fmamk_f32 v77, v17, 0x3dbcf732, v81
	v_add_f32_e32 v67, v67, v69
	v_fmamk_f32 v69, v17, 0x3f6eb680, v80
	v_mul_f32_e32 v16, 0xbf06c442, v16
	s_delay_alu instid0(VALU_DEP_4) | instskip(SKIP_3) | instid1(VALU_DEP_3)
	v_add_f32_e32 v72, v77, v72
	v_fma_f32 v77, 0xbf59a7d5, v85, -v79
	v_fmac_f32_e32 v79, 0xbf59a7d5, v85
	v_add_f32_e32 v69, v69, v82
	v_add_f32_e32 v45, v77, v45
	v_dual_add_f32 v77, v20, v18 :: v_dual_sub_f32 v18, v18, v20
	v_add_f32_e32 v68, v76, v68
	v_fma_f32 v76, 0x3f6eb680, v17, -v80
	v_fma_f32 v80, 0x3dbcf732, v85, -v75
	v_dual_add_f32 v56, v86, v56 :: v_dual_fmac_f32 v75, 0x3dbcf732, v85
	s_delay_alu instid0(VALU_DEP_3) | instskip(NEXT) | instid1(VALU_DEP_3)
	v_dual_add_f32 v47, v79, v47 :: v_dual_add_f32 v48, v76, v48
	v_add_f32_e32 v76, v80, v84
	v_fma_f32 v80, 0x3dbcf732, v17, -v81
	v_fmamk_f32 v81, v17, 0xbf59a7d5, v16
	v_add_f32_e32 v75, v75, v78
	v_fma_f32 v16, 0xbf59a7d5, v17, -v16
	v_add_f32_e32 v17, v21, v19
	v_add_f32_e32 v78, v80, v83
	v_dual_sub_f32 v80, v19, v21 :: v_dual_mul_f32 v19, 0xbf7ee86f, v18
	s_delay_alu instid0(VALU_DEP_4) | instskip(SKIP_1) | instid1(VALU_DEP_3)
	v_add_f32_e32 v16, v16, v22
	v_add_f32_e32 v54, v81, v54
	v_mul_f32_e32 v20, 0xbf7ee86f, v80
	v_mul_f32_e32 v22, 0xbe3c28d5, v80
	v_fmamk_f32 v79, v17, 0x3dbcf732, v19
	v_fma_f32 v19, 0x3dbcf732, v17, -v19
	s_delay_alu instid0(VALU_DEP_4) | instskip(SKIP_1) | instid1(VALU_DEP_4)
	v_fma_f32 v21, 0x3dbcf732, v77, -v20
	v_fmac_f32_e32 v20, 0x3dbcf732, v77
	v_dual_add_f32 v44, v79, v44 :: v_dual_mul_f32 v79, 0xbe3c28d5, v18
	s_delay_alu instid0(VALU_DEP_4) | instskip(NEXT) | instid1(VALU_DEP_4)
	v_add_f32_e32 v19, v19, v46
	v_add_f32_e32 v21, v21, v23
	v_fma_f32 v23, 0xbf7ba420, v77, -v22
	v_add_f32_e32 v20, v20, v56
	v_mul_f32_e32 v46, 0x3f763a35, v80
	v_fmac_f32_e32 v22, 0xbf7ba420, v77
	v_fma_f32 v56, 0xbf7ba420, v17, -v79
	v_add_f32_e32 v23, v23, v53
	v_fmamk_f32 v53, v17, 0xbf7ba420, v79
	v_mul_f32_e32 v79, 0x3f763a35, v18
	v_fma_f32 v81, 0xbe8c1d8e, v77, -v46
	v_add_f32_e32 v22, v22, v52
	s_delay_alu instid0(VALU_DEP_4) | instskip(NEXT) | instid1(VALU_DEP_4)
	v_dual_add_f32 v52, v56, v55 :: v_dual_add_f32 v53, v53, v57
	v_fmamk_f32 v55, v17, 0xbe8c1d8e, v79
	s_delay_alu instid0(VALU_DEP_4) | instskip(SKIP_1) | instid1(VALU_DEP_3)
	v_add_f32_e32 v56, v81, v59
	v_fma_f32 v59, 0xbe8c1d8e, v17, -v79
	v_add_f32_e32 v55, v55, v71
	v_mul_f32_e32 v71, 0x3eb8f4ab, v18
	v_fmac_f32_e32 v46, 0xbe8c1d8e, v77
	s_delay_alu instid0(VALU_DEP_4) | instskip(NEXT) | instid1(VALU_DEP_3)
	v_add_f32_e32 v59, v59, v61
	v_fmamk_f32 v61, v17, 0x3f6eb680, v71
	v_mul_f32_e32 v57, 0x3eb8f4ab, v80
	s_delay_alu instid0(VALU_DEP_4)
	v_add_f32_e32 v46, v46, v60
	v_mul_f32_e32 v60, 0xbf65296c, v80
	v_fma_f32 v71, 0x3f6eb680, v17, -v71
	v_add_f32_e32 v61, v61, v74
	v_fma_f32 v79, 0x3f6eb680, v77, -v57
	v_fmac_f32_e32 v57, 0x3f6eb680, v77
	s_delay_alu instid0(VALU_DEP_2) | instskip(SKIP_1) | instid1(VALU_DEP_3)
	v_dual_mul_f32 v74, 0xbf65296c, v18 :: v_dual_add_f32 v73, v79, v73
	v_fma_f32 v79, 0x3ee437d1, v77, -v60
	v_add_f32_e32 v57, v57, v58
	s_delay_alu instid0(VALU_DEP_3) | instskip(SKIP_1) | instid1(VALU_DEP_4)
	v_dual_add_f32 v58, v71, v62 :: v_dual_fmamk_f32 v71, v17, 0x3ee437d1, v74
	v_fma_f32 v74, 0x3ee437d1, v17, -v74
	v_add_f32_e32 v50, v79, v50
	v_mul_f32_e32 v79, 0xbf06c442, v18
	v_fmac_f32_e32 v60, 0x3ee437d1, v77
	v_dual_mul_f32 v62, 0xbf06c442, v80 :: v_dual_add_f32 v51, v71, v51
	v_mul_f32_e32 v71, 0x3f4c4adb, v80
	s_delay_alu instid0(VALU_DEP_3)
	v_dual_add_f32 v49, v60, v49 :: v_dual_add_f32 v60, v74, v68
	v_fmamk_f32 v68, v17, 0xbf59a7d5, v79
	v_fma_f32 v74, 0xbf59a7d5, v17, -v79
	v_fma_f32 v81, 0xbf59a7d5, v77, -v62
	v_fmac_f32_e32 v62, 0xbf59a7d5, v77
	v_fma_f32 v79, 0xbf1a4643, v77, -v71
	v_dual_add_f32 v68, v68, v69 :: v_dual_mul_f32 v69, 0x3f4c4adb, v18
	v_dual_add_f32 v48, v74, v48 :: v_dual_fmac_f32 v71, 0xbf1a4643, v77
	v_dual_mul_f32 v18, 0x3f2c7751, v18 :: v_dual_add_f32 v67, v81, v67
	s_delay_alu instid0(VALU_DEP_3) | instskip(SKIP_1) | instid1(VALU_DEP_4)
	v_fmamk_f32 v74, v17, 0xbf1a4643, v69
	v_fma_f32 v69, 0xbf1a4643, v17, -v69
	v_add_f32_e32 v71, v71, v75
	s_delay_alu instid0(VALU_DEP_4)
	v_fmamk_f32 v75, v17, 0x3f3d2fb0, v18
	v_fma_f32 v17, 0x3f3d2fb0, v17, -v18
	v_add_f32_e32 v72, v74, v72
	v_dual_sub_f32 v74, v9, v15 :: v_dual_add_f32 v9, v15, v9
	v_add_f32_e32 v62, v62, v70
	v_mul_f32_e32 v70, 0x3f2c7751, v80
	v_add_f32_e32 v76, v79, v76
	v_add_f32_e32 v16, v17, v16
	;; [unrolled: 1-line block ×3, first 2 shown]
	s_delay_alu instid0(VALU_DEP_4) | instskip(SKIP_3) | instid1(VALU_DEP_3)
	v_fma_f32 v79, 0x3f3d2fb0, v77, -v70
	v_dual_fmac_f32 v70, 0x3f3d2fb0, v77 :: v_dual_sub_f32 v77, v8, v14
	v_add_f32_e32 v8, v14, v8
	v_mul_f32_e32 v14, 0xbf763a35, v74
	v_dual_add_f32 v18, v75, v54 :: v_dual_add_f32 v47, v70, v47
	s_delay_alu instid0(VALU_DEP_4) | instskip(SKIP_1) | instid1(VALU_DEP_4)
	v_mul_f32_e32 v15, 0xbf763a35, v77
	v_mul_f32_e32 v75, 0x3f2c7751, v77
	v_fma_f32 v54, 0xbe8c1d8e, v8, -v14
	v_dual_fmac_f32 v14, 0xbe8c1d8e, v8 :: v_dual_add_f32 v45, v79, v45
	s_delay_alu instid0(VALU_DEP_4) | instskip(SKIP_1) | instid1(VALU_DEP_4)
	v_fmamk_f32 v17, v9, 0xbe8c1d8e, v15
	v_fma_f32 v15, 0xbe8c1d8e, v9, -v15
	v_add_f32_e32 v21, v54, v21
	v_mul_f32_e32 v54, 0x3f06c442, v77
	v_add_f32_e32 v14, v14, v20
	v_add_f32_e32 v17, v17, v44
	v_add_f32_e32 v15, v15, v19
	v_mul_f32_e32 v19, 0x3f2c7751, v74
	v_mul_f32_e32 v70, 0x3f06c442, v74
	s_delay_alu instid0(VALU_DEP_1) | instskip(NEXT) | instid1(VALU_DEP_1)
	v_fma_f32 v44, 0xbf59a7d5, v8, -v70
	v_dual_add_f32 v20, v44, v23 :: v_dual_fmamk_f32 v23, v9, 0xbf59a7d5, v54
	v_fma_f32 v44, 0xbf59a7d5, v9, -v54
	v_fma_f32 v54, 0x3f3d2fb0, v8, -v19
	v_fmac_f32_e32 v19, 0x3f3d2fb0, v8
	s_delay_alu instid0(VALU_DEP_3) | instskip(NEXT) | instid1(VALU_DEP_3)
	v_dual_add_f32 v23, v23, v53 :: v_dual_add_f32 v44, v44, v52
	v_add_f32_e32 v52, v54, v56
	v_fma_f32 v56, 0x3f3d2fb0, v9, -v75
	v_fmamk_f32 v53, v9, 0x3f3d2fb0, v75
	v_mul_f32_e32 v54, 0xbf65296c, v74
	v_add_f32_e32 v19, v19, v46
	s_delay_alu instid0(VALU_DEP_4) | instskip(SKIP_3) | instid1(VALU_DEP_2)
	v_dual_mul_f32 v75, 0x3f7ee86f, v77 :: v_dual_add_f32 v46, v56, v59
	v_mul_f32_e32 v59, 0xbe3c28d5, v74
	v_dual_fmac_f32 v70, 0xbf59a7d5, v8 :: v_dual_add_f32 v53, v53, v55
	v_fma_f32 v55, 0x3ee437d1, v8, -v54
	v_add_f32_e32 v22, v70, v22
	v_mul_f32_e32 v70, 0xbf65296c, v77
	s_delay_alu instid0(VALU_DEP_3) | instskip(SKIP_2) | instid1(VALU_DEP_4)
	v_add_f32_e32 v55, v55, v73
	v_mul_f32_e32 v73, 0xbe3c28d5, v77
	v_fmac_f32_e32 v54, 0x3ee437d1, v8
	v_fmamk_f32 v56, v9, 0x3ee437d1, v70
	v_fma_f32 v70, 0x3ee437d1, v9, -v70
	s_delay_alu instid0(VALU_DEP_3) | instskip(NEXT) | instid1(VALU_DEP_3)
	v_add_f32_e32 v54, v54, v57
	v_add_f32_e32 v56, v56, v61
	v_fma_f32 v61, 0xbf7ba420, v8, -v59
	s_delay_alu instid0(VALU_DEP_4)
	v_add_f32_e32 v57, v70, v58
	v_mul_f32_e32 v58, 0x3f7ee86f, v74
	v_fmac_f32_e32 v59, 0xbf7ba420, v8
	v_fma_f32 v70, 0xbf7ba420, v9, -v73
	v_add_f32_e32 v50, v61, v50
	v_fmamk_f32 v61, v9, 0xbf7ba420, v73
	v_fma_f32 v73, 0x3dbcf732, v8, -v58
	v_add_f32_e32 v49, v59, v49
	v_add_f32_e32 v59, v70, v60
	s_delay_alu instid0(VALU_DEP_4) | instskip(NEXT) | instid1(VALU_DEP_4)
	v_dual_fmac_f32 v58, 0x3dbcf732, v8 :: v_dual_add_f32 v51, v61, v51
	v_add_f32_e32 v60, v73, v67
	v_fmamk_f32 v61, v9, 0x3dbcf732, v75
	v_dual_mul_f32 v67, 0xbeb8f4ab, v74 :: v_dual_mul_f32 v70, 0xbeb8f4ab, v77
	v_fma_f32 v73, 0x3dbcf732, v9, -v75
	s_delay_alu instid0(VALU_DEP_3) | instskip(NEXT) | instid1(VALU_DEP_3)
	v_add_f32_e32 v61, v61, v68
	v_fma_f32 v68, 0x3f6eb680, v8, -v67
	v_fmac_f32_e32 v67, 0x3f6eb680, v8
	s_delay_alu instid0(VALU_DEP_4) | instskip(NEXT) | instid1(VALU_DEP_2)
	v_dual_add_f32 v48, v73, v48 :: v_dual_mul_f32 v73, 0xbf4c4adb, v74
	v_dual_mul_f32 v74, 0xbf4c4adb, v77 :: v_dual_add_f32 v67, v67, v71
	v_dual_sub_f32 v71, v11, v13 :: v_dual_add_f32 v58, v58, v62
	v_fmamk_f32 v62, v9, 0x3f6eb680, v70
	v_fma_f32 v70, 0x3f6eb680, v9, -v70
	s_delay_alu instid0(VALU_DEP_2) | instskip(SKIP_1) | instid1(VALU_DEP_3)
	v_dual_mul_f32 v75, 0xbf4c4adb, v71 :: v_dual_add_f32 v62, v62, v72
	v_fma_f32 v72, 0xbf1a4643, v8, -v73
	v_dual_add_f32 v69, v70, v69 :: v_dual_fmamk_f32 v70, v9, 0xbf1a4643, v74
	v_fmac_f32_e32 v73, 0xbf1a4643, v8
	v_fma_f32 v8, 0xbf1a4643, v9, -v74
	s_delay_alu instid0(VALU_DEP_4) | instskip(SKIP_4) | instid1(VALU_DEP_3)
	v_add_f32_e32 v45, v72, v45
	v_add_f32_e32 v72, v12, v10
	v_dual_sub_f32 v10, v10, v12 :: v_dual_add_f32 v9, v13, v11
	v_dual_add_f32 v13, v70, v18 :: v_dual_add_f32 v18, v73, v47
	v_add_f32_e32 v8, v8, v16
	v_mul_f32_e32 v12, 0xbf4c4adb, v10
	v_dual_mul_f32 v47, 0x3f763a35, v10 :: v_dual_add_f32 v68, v68, v76
	v_mul_f32_e32 v70, 0xbeb8f4ab, v71
	s_delay_alu instid0(VALU_DEP_3) | instskip(SKIP_1) | instid1(VALU_DEP_2)
	v_fmamk_f32 v16, v9, 0xbf1a4643, v12
	v_fma_f32 v12, 0xbf1a4643, v9, -v12
	v_add_f32_e32 v16, v16, v17
	s_delay_alu instid0(VALU_DEP_2) | instskip(NEXT) | instid1(VALU_DEP_1)
	v_dual_add_f32 v12, v12, v15 :: v_dual_fmamk_f32 v15, v9, 0xbe8c1d8e, v47
	v_add_f32_e32 v15, v15, v23
	v_fma_f32 v23, 0x3f6eb680, v72, -v70
	v_fmac_f32_e32 v70, 0x3f6eb680, v72
	s_delay_alu instid0(VALU_DEP_2) | instskip(NEXT) | instid1(VALU_DEP_2)
	v_add_f32_e32 v23, v23, v52
	v_add_f32_e32 v19, v70, v19
	v_fma_f32 v11, 0xbf1a4643, v72, -v75
	v_fmac_f32_e32 v75, 0xbf1a4643, v72
	s_delay_alu instid0(VALU_DEP_2) | instskip(NEXT) | instid1(VALU_DEP_2)
	v_add_f32_e32 v11, v11, v21
	v_dual_mul_f32 v21, 0x3f763a35, v71 :: v_dual_add_f32 v14, v75, v14
	s_delay_alu instid0(VALU_DEP_1) | instskip(SKIP_1) | instid1(VALU_DEP_2)
	v_fma_f32 v17, 0xbe8c1d8e, v72, -v21
	v_fmac_f32_e32 v21, 0xbe8c1d8e, v72
	v_add_f32_e32 v17, v17, v20
	v_fma_f32 v20, 0xbe8c1d8e, v9, -v47
	v_mul_f32_e32 v47, 0xbeb8f4ab, v10
	s_delay_alu instid0(VALU_DEP_4) | instskip(NEXT) | instid1(VALU_DEP_3)
	v_dual_add_f32 v21, v21, v22 :: v_dual_mul_f32 v22, 0xbf06c442, v71
	v_add_f32_e32 v20, v20, v44
	s_delay_alu instid0(VALU_DEP_3) | instskip(SKIP_1) | instid1(VALU_DEP_4)
	v_fmamk_f32 v44, v9, 0x3f6eb680, v47
	v_fma_f32 v47, 0x3f6eb680, v9, -v47
	v_fma_f32 v52, 0xbf59a7d5, v72, -v22
	v_fmac_f32_e32 v22, 0xbf59a7d5, v72
	s_delay_alu instid0(VALU_DEP_4) | instskip(SKIP_1) | instid1(VALU_DEP_4)
	v_dual_add_f32 v44, v44, v53 :: v_dual_mul_f32 v53, 0x3f7ee86f, v71
	v_mul_f32_e32 v73, 0xbf06c442, v10
	v_dual_add_f32 v46, v47, v46 :: v_dual_add_f32 v47, v52, v55
	v_mul_f32_e32 v70, 0x3f7ee86f, v10
	v_add_f32_e32 v22, v22, v54
	s_delay_alu instid0(VALU_DEP_4) | instskip(SKIP_1) | instid1(VALU_DEP_2)
	v_fmamk_f32 v52, v9, 0xbf59a7d5, v73
	v_fma_f32 v55, 0xbf59a7d5, v9, -v73
	v_dual_mul_f32 v73, 0xbe3c28d5, v10 :: v_dual_add_f32 v52, v52, v56
	v_fma_f32 v56, 0x3dbcf732, v72, -v53
	s_delay_alu instid0(VALU_DEP_3) | instskip(SKIP_1) | instid1(VALU_DEP_3)
	v_dual_add_f32 v54, v55, v57 :: v_dual_fmamk_f32 v55, v9, 0x3dbcf732, v70
	v_mul_f32_e32 v57, 0xbf2c7751, v71
	v_dual_fmac_f32 v53, 0x3dbcf732, v72 :: v_dual_add_f32 v50, v56, v50
	v_fma_f32 v56, 0x3dbcf732, v9, -v70
	s_delay_alu instid0(VALU_DEP_4) | instskip(NEXT) | instid1(VALU_DEP_4)
	v_add_f32_e32 v51, v55, v51
	v_fma_f32 v55, 0x3f3d2fb0, v72, -v57
	s_delay_alu instid0(VALU_DEP_4) | instskip(NEXT) | instid1(VALU_DEP_4)
	v_dual_mul_f32 v70, 0xbf2c7751, v10 :: v_dual_add_f32 v49, v53, v49
	v_add_f32_e32 v53, v56, v59
	s_delay_alu instid0(VALU_DEP_3) | instskip(NEXT) | instid1(VALU_DEP_3)
	v_dual_mul_f32 v56, 0xbe3c28d5, v71 :: v_dual_add_f32 v55, v55, v60
	v_fmamk_f32 v59, v9, 0x3f3d2fb0, v70
	v_fmac_f32_e32 v57, 0x3f3d2fb0, v72
	v_fma_f32 v60, 0x3f3d2fb0, v9, -v70
	s_delay_alu instid0(VALU_DEP_4) | instskip(NEXT) | instid1(VALU_DEP_4)
	v_fma_f32 v70, 0xbf7ba420, v72, -v56
	v_dual_fmac_f32 v56, 0xbf7ba420, v72 :: v_dual_add_f32 v59, v59, v61
	s_delay_alu instid0(VALU_DEP_4) | instskip(NEXT) | instid1(VALU_DEP_3)
	v_add_f32_e32 v57, v57, v58
	v_dual_mul_f32 v61, 0x3f65296c, v71 :: v_dual_add_f32 v58, v70, v68
	v_fma_f32 v68, 0xbf7ba420, v9, -v73
	s_delay_alu instid0(VALU_DEP_4) | instskip(SKIP_1) | instid1(VALU_DEP_3)
	v_add_f32_e32 v56, v56, v67
	v_lshl_add_u32 v71, v35, 3, v63
	v_dual_add_f32 v67, v68, v69 :: v_dual_sub_f32 v68, v1, v7
	v_dual_add_f32 v1, v7, v1 :: v_dual_add_f32 v48, v60, v48
	v_fmamk_f32 v60, v9, 0xbf7ba420, v73
	v_mul_f32_e32 v10, 0x3f65296c, v10
	v_lshl_add_u32 v73, v37, 3, v63
	s_delay_alu instid0(VALU_DEP_3) | instskip(SKIP_1) | instid1(VALU_DEP_4)
	v_add_f32_e32 v60, v60, v62
	v_fma_f32 v62, 0x3ee437d1, v72, -v61
	v_dual_fmamk_f32 v70, v9, 0x3ee437d1, v10 :: v_dual_fmac_f32 v61, 0x3ee437d1, v72
	v_fma_f32 v9, 0x3ee437d1, v9, -v10
	v_lshl_add_u32 v72, v39, 3, v63
	s_delay_alu instid0(VALU_DEP_4)
	v_add_f32_e32 v45, v62, v45
	v_add_f32_e32 v62, v6, v0
	v_sub_f32_e32 v0, v0, v6
	v_mul_f32_e32 v6, 0xbf06c442, v68
	v_add_f32_e32 v18, v61, v18
	v_add_f32_e32 v8, v9, v8
	v_mul_f32_e32 v9, 0x3f65296c, v68
	v_mul_f32_e32 v7, 0xbf06c442, v0
	v_fma_f32 v10, 0xbf59a7d5, v62, -v6
	s_delay_alu instid0(VALU_DEP_2) | instskip(NEXT) | instid1(VALU_DEP_2)
	v_dual_fmac_f32 v6, 0xbf59a7d5, v62 :: v_dual_fmamk_f32 v61, v1, 0xbf59a7d5, v7
	v_add_f32_e32 v10, v10, v11
	v_fma_f32 v11, 0x3ee437d1, v62, -v9
	s_delay_alu instid0(VALU_DEP_3) | instskip(SKIP_4) | instid1(VALU_DEP_4)
	v_add_f32_e32 v6, v6, v14
	v_fma_f32 v7, 0xbf59a7d5, v1, -v7
	v_add_f32_e32 v16, v61, v16
	v_mul_f32_e32 v61, 0x3f65296c, v0
	v_add_f32_e32 v11, v11, v17
	v_add_f32_e32 v7, v7, v12
	v_mul_f32_e32 v12, 0xbf7ee86f, v68
	s_delay_alu instid0(VALU_DEP_4) | instskip(SKIP_1) | instid1(VALU_DEP_1)
	v_fmamk_f32 v14, v1, 0x3ee437d1, v61
	v_fma_f32 v17, 0x3ee437d1, v1, -v61
	v_dual_add_f32 v14, v14, v15 :: v_dual_add_f32 v15, v17, v20
	v_mul_f32_e32 v61, 0xbf7ee86f, v0
	s_delay_alu instid0(VALU_DEP_1) | instskip(SKIP_2) | instid1(VALU_DEP_3)
	v_fmamk_f32 v17, v1, 0x3dbcf732, v61
	v_fmac_f32_e32 v9, 0x3ee437d1, v62
	v_fma_f32 v69, 0x3dbcf732, v62, -v12
	v_add_f32_e32 v17, v17, v44
	s_delay_alu instid0(VALU_DEP_3) | instskip(NEXT) | instid1(VALU_DEP_3)
	v_add_f32_e32 v9, v9, v21
	v_dual_mul_f32 v21, 0x3f4c4adb, v68 :: v_dual_add_f32 v20, v69, v23
	v_fma_f32 v23, 0x3dbcf732, v1, -v61
	v_mul_f32_e32 v44, 0x3f4c4adb, v0
	s_delay_alu instid0(VALU_DEP_3) | instskip(SKIP_1) | instid1(VALU_DEP_3)
	v_fma_f32 v61, 0xbf1a4643, v62, -v21
	v_fmac_f32_e32 v21, 0xbf1a4643, v62
	v_dual_add_f32 v23, v23, v46 :: v_dual_fmamk_f32 v46, v1, 0xbf1a4643, v44
	v_fma_f32 v44, 0xbf1a4643, v1, -v44
	s_delay_alu instid0(VALU_DEP_4) | instskip(NEXT) | instid1(VALU_DEP_4)
	v_add_f32_e32 v47, v61, v47
	v_add_f32_e32 v21, v21, v22
	v_fmac_f32_e32 v12, 0x3dbcf732, v62
	v_add_f32_e32 v46, v46, v52
	v_mul_f32_e32 v52, 0xbeb8f4ab, v0
	v_add_f32_e32 v22, v44, v54
	s_delay_alu instid0(VALU_DEP_4) | instskip(NEXT) | instid1(VALU_DEP_1)
	v_dual_add_f32 v12, v12, v19 :: v_dual_mul_f32 v19, 0xbeb8f4ab, v68
	v_fma_f32 v61, 0x3f6eb680, v62, -v19
	s_delay_alu instid0(VALU_DEP_4) | instskip(SKIP_1) | instid1(VALU_DEP_2)
	v_dual_fmac_f32 v19, 0x3f6eb680, v62 :: v_dual_fmamk_f32 v54, v1, 0x3f6eb680, v52
	v_fma_f32 v52, 0x3f6eb680, v1, -v52
	v_add_f32_e32 v49, v19, v49
	s_delay_alu instid0(VALU_DEP_3)
	v_add_f32_e32 v51, v54, v51
	v_dual_add_f32 v13, v70, v13 :: v_dual_add_f32 v44, v61, v50
	v_mul_f32_e32 v61, 0xbe3c28d5, v0
	v_mul_f32_e32 v50, 0xbe3c28d5, v68
	;; [unrolled: 1-line block ×3, first 2 shown]
	v_lshl_add_u32 v70, v34, 3, v63
	s_delay_alu instid0(VALU_DEP_4) | instskip(NEXT) | instid1(VALU_DEP_4)
	v_fmamk_f32 v19, v1, 0xbf7ba420, v61
	v_fma_f32 v69, 0xbf7ba420, v62, -v50
	s_delay_alu instid0(VALU_DEP_2) | instskip(SKIP_2) | instid1(VALU_DEP_2)
	v_dual_add_f32 v59, v19, v59 :: v_dual_fmac_f32 v50, 0xbf7ba420, v62
	v_mul_f32_e32 v19, 0x3f2c7751, v0
	v_mul_f32_e32 v0, 0xbf763a35, v0
	v_dual_add_f32 v50, v50, v57 :: v_dual_fmamk_f32 v57, v1, 0x3f3d2fb0, v19
	v_dual_add_f32 v52, v52, v53 :: v_dual_add_f32 v53, v69, v55
	v_fma_f32 v55, 0xbf7ba420, v1, -v61
	v_fma_f32 v61, 0x3f3d2fb0, v62, -v54
	s_delay_alu instid0(VALU_DEP_4) | instskip(SKIP_1) | instid1(VALU_DEP_4)
	v_dual_add_f32 v57, v57, v60 :: v_dual_fmac_f32 v54, 0x3f3d2fb0, v62
	v_fma_f32 v19, 0x3f3d2fb0, v1, -v19
	v_add_f32_e32 v48, v55, v48
	s_delay_alu instid0(VALU_DEP_4) | instskip(NEXT) | instid1(VALU_DEP_4)
	v_dual_mul_f32 v55, 0xbf763a35, v68 :: v_dual_add_f32 v58, v61, v58
	v_add_f32_e32 v54, v54, v56
	s_delay_alu instid0(VALU_DEP_2)
	v_fma_f32 v61, 0xbe8c1d8e, v62, -v55
	v_fmac_f32_e32 v55, 0xbe8c1d8e, v62
	v_add_f32_e32 v62, v4, v2
	v_add_f32_e32 v56, v19, v67
	;; [unrolled: 1-line block ×4, first 2 shown]
	v_sub_f32_e32 v45, v3, v5
	v_sub_f32_e32 v61, v2, v4
	v_fmamk_f32 v19, v1, 0xbe8c1d8e, v0
	v_fma_f32 v0, 0xbe8c1d8e, v1, -v0
	s_delay_alu instid0(VALU_DEP_4) | instskip(NEXT) | instid1(VALU_DEP_4)
	v_dual_add_f32 v55, v55, v18 :: v_dual_mul_f32 v2, 0xbe3c28d5, v45
	v_mul_f32_e32 v1, 0xbe3c28d5, v61
	s_delay_alu instid0(VALU_DEP_4)
	v_add_f32_e32 v68, v19, v13
	v_mul_f32_e32 v5, 0x3eb8f4ab, v45
	v_mul_f32_e32 v13, 0x3f2c7751, v45
	v_fma_f32 v3, 0xbf7ba420, v62, -v2
	v_dual_fmamk_f32 v4, v67, 0xbf7ba420, v1 :: v_dual_add_f32 v69, v0, v8
	v_fmac_f32_e32 v2, 0xbf7ba420, v62
	v_mul_f32_e32 v8, 0x3eb8f4ab, v61
	s_delay_alu instid0(VALU_DEP_4) | instskip(SKIP_4) | instid1(VALU_DEP_4)
	v_add_f32_e32 v0, v3, v10
	v_fma_f32 v3, 0xbf7ba420, v67, -v1
	v_add_f32_e32 v1, v4, v16
	v_fma_f32 v4, 0x3f6eb680, v62, -v5
	v_mul_f32_e32 v10, 0xbf06c442, v45
	v_dual_add_f32 v18, v2, v6 :: v_dual_add_f32 v19, v3, v7
	s_delay_alu instid0(VALU_DEP_3)
	v_dual_fmamk_f32 v3, v67, 0x3f6eb680, v8 :: v_dual_add_f32 v2, v4, v11
	v_fmac_f32_e32 v5, 0x3f6eb680, v62
	v_fma_f32 v6, 0x3f6eb680, v67, -v8
	v_fma_f32 v7, 0xbf59a7d5, v62, -v10
	v_mul_f32_e32 v8, 0xbf06c442, v61
	v_fmac_f32_e32 v10, 0xbf59a7d5, v62
	v_mul_f32_e32 v11, 0x3f2c7751, v61
	v_dual_add_f32 v3, v3, v14 :: v_dual_add_f32 v4, v5, v9
	v_dual_add_f32 v5, v6, v15 :: v_dual_add_f32 v6, v7, v20
	v_fmamk_f32 v7, v67, 0xbf59a7d5, v8
	v_fma_f32 v9, 0xbf59a7d5, v67, -v8
	v_fma_f32 v14, 0x3f3d2fb0, v62, -v13
	v_add_f32_e32 v8, v10, v12
	v_fmamk_f32 v12, v67, 0x3f3d2fb0, v11
	v_mul_f32_e32 v16, 0xbf4c4adb, v45
	s_delay_alu instid0(VALU_DEP_4) | instskip(SKIP_1) | instid1(VALU_DEP_4)
	v_dual_fmac_f32 v13, 0x3f3d2fb0, v62 :: v_dual_add_f32 v10, v14, v47
	v_fma_f32 v14, 0x3f3d2fb0, v67, -v11
	v_add_f32_e32 v11, v12, v46
	s_delay_alu instid0(VALU_DEP_4) | instskip(NEXT) | instid1(VALU_DEP_4)
	v_fma_f32 v15, 0xbf1a4643, v62, -v16
	v_add_f32_e32 v12, v13, v21
	v_mul_f32_e32 v21, 0x3f65296c, v61
	v_add_f32_e32 v9, v9, v23
	s_delay_alu instid0(VALU_DEP_4) | instskip(SKIP_1) | instid1(VALU_DEP_4)
	v_dual_add_f32 v13, v14, v22 :: v_dual_add_f32 v14, v15, v44
	v_mul_f32_e32 v47, 0xbf763a35, v61
	v_fmamk_f32 v23, v67, 0x3ee437d1, v21
	v_fma_f32 v44, 0x3ee437d1, v67, -v21
	v_mul_f32_e32 v46, 0xbf763a35, v45
	v_add_f32_e32 v7, v7, v17
	v_mul_f32_e32 v17, 0xbf4c4adb, v61
	v_add_f32_e32 v21, v23, v59
	v_dual_add_f32 v23, v44, v48 :: v_dual_fmamk_f32 v48, v67, 0xbe8c1d8e, v47
	v_fma_f32 v47, 0xbe8c1d8e, v67, -v47
	s_delay_alu instid0(VALU_DEP_4) | instskip(SKIP_1) | instid1(VALU_DEP_3)
	v_fmamk_f32 v15, v67, 0xbf1a4643, v17
	v_fma_f32 v17, 0xbf1a4643, v67, -v17
	v_dual_add_f32 v47, v47, v56 :: v_dual_fmac_f32 v16, 0xbf1a4643, v62
	s_delay_alu instid0(VALU_DEP_3) | instskip(NEXT) | instid1(VALU_DEP_2)
	v_add_f32_e32 v15, v15, v51
	v_dual_add_f32 v17, v17, v52 :: v_dual_add_f32 v16, v16, v49
	v_fma_f32 v49, 0xbe8c1d8e, v62, -v46
	v_fmac_f32_e32 v46, 0xbe8c1d8e, v62
	s_delay_alu instid0(VALU_DEP_2) | instskip(NEXT) | instid1(VALU_DEP_1)
	v_dual_add_f32 v44, v49, v58 :: v_dual_mul_f32 v49, 0x3f7ee86f, v61
	v_dual_add_f32 v46, v46, v54 :: v_dual_fmamk_f32 v51, v67, 0x3dbcf732, v49
	v_mul_f32_e32 v22, 0x3f65296c, v45
	v_fma_f32 v52, 0x3dbcf732, v67, -v49
	v_lshl_add_u32 v67, v31, 3, v63
	s_delay_alu instid0(VALU_DEP_4) | instskip(NEXT) | instid1(VALU_DEP_4)
	v_add_f32_e32 v49, v51, v68
	v_fma_f32 v20, 0x3ee437d1, v62, -v22
	s_delay_alu instid0(VALU_DEP_4) | instskip(SKIP_2) | instid1(VALU_DEP_4)
	v_dual_fmac_f32 v22, 0x3ee437d1, v62 :: v_dual_add_f32 v51, v52, v69
	v_mad_u32_u24 v52, 0x88, v26, v63
	v_lshl_add_u32 v69, v33, 3, v63
	v_add_f32_e32 v20, v20, v53
	s_delay_alu instid0(VALU_DEP_4) | instskip(SKIP_3) | instid1(VALU_DEP_3)
	v_add_f32_e32 v22, v22, v50
	v_mul_f32_e32 v50, 0x3f7ee86f, v45
	v_add_f32_e32 v45, v48, v57
	v_lshl_add_u32 v68, v32, 3, v63
	v_fma_f32 v48, 0x3dbcf732, v62, -v50
	v_fmac_f32_e32 v50, 0x3dbcf732, v62
	s_delay_alu instid0(VALU_DEP_2) | instskip(NEXT) | instid1(VALU_DEP_2)
	v_add_f32_e32 v48, v48, v60
	v_add_f32_e32 v50, v50, v55
	ds_store_2addr_b64 v52, v[40:41], v[0:1] offset1:1
	ds_store_2addr_b64 v52, v[2:3], v[6:7] offset0:2 offset1:3
	ds_store_2addr_b64 v52, v[10:11], v[14:15] offset0:4 offset1:5
	;; [unrolled: 1-line block ×7, first 2 shown]
	ds_store_b64 v52, v[18:19] offset:128
	global_wb scope:SCOPE_SE
	s_wait_dscnt 0x0
	s_barrier_signal -1
	s_barrier_wait -1
	global_inv scope:SCOPE_SE
	ds_load_2addr_b64 v[0:3], v43 offset0:66 offset1:134
	ds_load_2addr_b64 v[4:7], v42 offset0:74 offset1:142
	ds_load_b64 v[42:43], v64
	ds_load_b64 v[40:41], v73
	ds_load_b64 v[22:23], v72
	ds_load_b64 v[20:21], v71
	ds_load_2addr_b64 v[8:11], v38 offset0:82 offset1:150
	ds_load_2addr_b64 v[12:15], v36 offset0:90 offset1:158
	ds_load_b64 v[50:51], v70
	ds_load_b64 v[48:49], v69
	;; [unrolled: 1-line block ×4, first 2 shown]
	v_lshlrev_b32_e32 v36, 3, v30
                                        ; implicit-def: $vgpr17
	s_and_saveexec_b32 s1, s0
	s_cbranch_execz .LBB0_14
; %bb.13:
	s_delay_alu instid0(VALU_DEP_1)
	v_add3_u32 v16, 0, v36, v27
	ds_load_b64 v[18:19], v16
	ds_load_b64 v[16:17], v66 offset:8976
.LBB0_14:
	s_wait_alu 0xfffe
	s_or_b32 exec_lo, exec_lo, s1
	v_and_b32_e32 v38, 0xff, v26
	v_and_b32_e32 v52, 0xff, v37
	;; [unrolled: 1-line block ×5, first 2 shown]
	v_mul_lo_u16 v38, 0xf1, v38
	v_mul_lo_u16 v52, 0xf1, v52
	;; [unrolled: 1-line block ×3, first 2 shown]
	v_mul_u32_u24_e32 v54, 0xf0f1, v54
	v_mul_u32_u24_e32 v74, 0xf0f1, v55
	v_lshrrev_b16 v82, 12, v38
	v_lshrrev_b16 v83, 12, v52
	;; [unrolled: 1-line block ×3, first 2 shown]
	v_lshrrev_b32_e32 v85, 20, v54
	v_and_b32_e32 v38, 0xffff, v33
	v_mul_lo_u16 v52, v82, 17
	v_mul_lo_u16 v53, v83, 17
	;; [unrolled: 1-line block ×4, first 2 shown]
	v_and_b32_e32 v62, 0xffff, v31
	v_sub_nc_u16 v52, v26, v52
	v_sub_nc_u16 v53, v37, v53
	;; [unrolled: 1-line block ×4, first 2 shown]
	v_mul_u32_u24_e32 v38, 0xf0f1, v38
	v_and_b32_e32 v52, 0xff, v52
	v_and_b32_e32 v53, 0xff, v53
	;; [unrolled: 1-line block ×4, first 2 shown]
	v_lshrrev_b32_e32 v90, 20, v74
	v_lshlrev_b32_e32 v86, 3, v52
	v_lshlrev_b32_e32 v87, 3, v53
	;; [unrolled: 1-line block ×4, first 2 shown]
	v_and_b32_e32 v52, 0xffff, v30
	s_clause 0x3
	global_load_b64 v[53:54], v86, s[8:9]
	global_load_b64 v[55:56], v87, s[8:9]
	;; [unrolled: 1-line block ×4, first 2 shown]
	v_and_b32_e32 v61, 0xffff, v32
	v_mul_u32_u24_e32 v62, 0xf0f1, v62
	v_lshrrev_b32_e32 v91, 20, v38
	v_mul_u32_u24_e32 v38, 0xf0f1, v52
	v_mul_lo_u16 v52, v90, 17
	v_mul_u32_u24_e32 v61, 0xf0f1, v61
	v_lshrrev_b32_e32 v93, 20, v62
	v_and_b32_e32 v83, 0xffff, v83
	v_lshrrev_b32_e32 v38, 20, v38
	v_sub_nc_u16 v52, v34, v52
	v_lshrrev_b32_e32 v92, 20, v61
	v_mul_lo_u16 v61, v91, 17
	v_mul_lo_u16 v74, v93, 17
	v_and_b32_e32 v84, 0xffff, v84
	v_and_b32_e32 v52, 0xffff, v52
	v_mul_lo_u16 v62, v92, 17
	v_sub_nc_u16 v61, v33, v61
	v_sub_nc_u16 v74, v31, v74
	v_mul_lo_u16 v75, v38, 17
	v_lshlrev_b32_e32 v94, 3, v52
	v_sub_nc_u16 v62, v32, v62
	v_and_b32_e32 v61, 0xffff, v61
	v_and_b32_e32 v74, 0xffff, v74
	v_mad_u32_u24 v85, 0x110, v85, 0
	v_mad_u32_u24 v91, 0x110, v91, 0
	v_and_b32_e32 v62, 0xffff, v62
	v_lshlrev_b32_e32 v95, 3, v61
	v_mad_u32_u24 v92, 0x110, v92, 0
	v_mad_u32_u24 v93, 0x110, v93, 0
	;; [unrolled: 1-line block ×3, first 2 shown]
	v_lshlrev_b32_e32 v96, 3, v62
	global_load_b64 v[61:62], v94, s[8:9]
	v_lshlrev_b32_e32 v97, 3, v74
	v_mad_u32_u24 v84, 0x110, v84, 0
	v_sub_nc_u16 v75, v30, v75
	v_and_b32_e32 v82, 0xffff, v82
	v_mad_u32_u24 v90, 0x110, v90, 0
	s_delay_alu instid0(VALU_DEP_4) | instskip(SKIP_1) | instid1(VALU_DEP_4)
	v_add3_u32 v84, v84, v88, v27
	v_add3_u32 v88, v92, v96, v27
	v_mad_u32_u24 v82, 0x110, v82, 0
	s_wait_loadcnt_dscnt 0x20a
	v_mul_f32_e32 v92, v58, v5
	v_add3_u32 v85, v85, v89, v27
	v_add3_u32 v89, v93, v97, v27
	s_wait_loadcnt 0x1
	v_dual_mul_f32 v58, v58, v4 :: v_dual_mul_f32 v93, v60, v7
	v_mul_f32_e32 v60, v60, v6
	v_add3_u32 v83, v83, v87, v27
	v_add3_u32 v87, v91, v95, v27
	v_mul_f32_e32 v91, v56, v3
	v_mul_f32_e32 v56, v56, v2
	v_fmac_f32_e32 v58, v57, v5
	v_and_b32_e32 v52, 0xffff, v75
	v_fma_f32 v4, v57, v4, -v92
	v_fma_f32 v2, v55, v2, -v91
	v_fmac_f32_e32 v56, v55, v3
	s_wait_dscnt 0x7
	v_sub_f32_e32 v5, v23, v58
	global_load_b64 v[74:75], v95, s[8:9]
	v_fma_f32 v6, v59, v6, -v93
	v_fmac_f32_e32 v60, v59, v7
	v_dual_sub_f32 v2, v40, v2 :: v_dual_sub_f32 v3, v41, v56
	v_sub_f32_e32 v4, v22, v4
	s_wait_dscnt 0x6
	s_delay_alu instid0(VALU_DEP_3) | instskip(NEXT) | instid1(VALU_DEP_3)
	v_dual_sub_f32 v6, v20, v6 :: v_dual_sub_f32 v7, v21, v60
	v_fma_f32 v40, v40, 2.0, -v2
	v_fma_f32 v41, v41, 2.0, -v3
	;; [unrolled: 1-line block ×6, first 2 shown]
	s_wait_loadcnt_dscnt 0x5
	v_mul_f32_e32 v95, v75, v11
	v_mul_f32_e32 v75, v75, v10
	s_delay_alu instid0(VALU_DEP_2) | instskip(NEXT) | instid1(VALU_DEP_2)
	v_fma_f32 v10, v74, v10, -v95
	v_fmac_f32_e32 v75, v74, v11
	v_add3_u32 v82, v82, v86, v27
	v_add3_u32 v86, v90, v94, v27
	v_mul_f32_e32 v94, v62, v9
	s_wait_dscnt 0x2
	v_dual_mul_f32 v62, v62, v8 :: v_dual_sub_f32 v11, v49, v75
	v_mul_f32_e32 v90, v54, v1
	v_mul_f32_e32 v54, v54, v0
	v_fma_f32 v8, v61, v8, -v94
	s_delay_alu instid0(VALU_DEP_4) | instskip(SKIP_3) | instid1(VALU_DEP_4)
	v_fmac_f32_e32 v62, v61, v9
	v_lshlrev_b32_e32 v80, 3, v52
	v_fma_f32 v0, v53, v0, -v90
	v_fmac_f32_e32 v54, v53, v1
	v_dual_sub_f32 v8, v50, v8 :: v_dual_sub_f32 v9, v51, v62
	s_clause 0x2
	global_load_b64 v[76:77], v96, s[8:9]
	global_load_b64 v[78:79], v97, s[8:9]
	;; [unrolled: 1-line block ×3, first 2 shown]
	v_sub_f32_e32 v10, v48, v10
	v_sub_f32_e32 v1, v43, v54
	v_fma_f32 v50, v50, 2.0, -v8
	v_fma_f32 v51, v51, 2.0, -v9
	global_wb scope:SCOPE_SE
	s_wait_loadcnt_dscnt 0x0
	s_barrier_signal -1
	v_fma_f32 v43, v43, 2.0, -v1
	s_barrier_wait -1
	global_inv scope:SCOPE_SE
	v_fma_f32 v48, v48, 2.0, -v10
	v_fma_f32 v49, v49, 2.0, -v11
	v_mul_f32_e32 v96, v77, v13
	v_mul_f32_e32 v77, v77, v12
	;; [unrolled: 1-line block ×3, first 2 shown]
	v_dual_mul_f32 v79, v14, v79 :: v_dual_mul_f32 v98, v17, v81
	v_mul_f32_e32 v81, v16, v81
	v_fma_f32 v12, v76, v12, -v96
	v_fmac_f32_e32 v77, v76, v13
	v_fma_f32 v14, v14, v78, -v97
	v_fmac_f32_e32 v79, v15, v78
	;; [unrolled: 2-line block ×3, first 2 shown]
	v_sub_f32_e32 v0, v42, v0
	v_dual_sub_f32 v12, v46, v12 :: v_dual_sub_f32 v13, v47, v77
	s_delay_alu instid0(VALU_DEP_3) | instskip(SKIP_1) | instid1(VALU_DEP_4)
	v_dual_sub_f32 v14, v44, v14 :: v_dual_sub_f32 v17, v19, v81
	v_dual_sub_f32 v15, v45, v79 :: v_dual_sub_f32 v16, v18, v16
	v_fma_f32 v42, v42, 2.0, -v0
	s_delay_alu instid0(VALU_DEP_4)
	v_fma_f32 v46, v46, 2.0, -v12
	v_fma_f32 v47, v47, 2.0, -v13
	;; [unrolled: 1-line block ×4, first 2 shown]
	ds_store_2addr_b64 v82, v[42:43], v[0:1] offset1:17
	ds_store_2addr_b64 v83, v[40:41], v[2:3] offset1:17
	;; [unrolled: 1-line block ×8, first 2 shown]
	s_and_saveexec_b32 s1, s0
	s_cbranch_execz .LBB0_16
; %bb.15:
	v_mul_lo_u16 v0, v38, 34
	v_lshl_add_u32 v2, v52, 3, 0
	v_fma_f32 v1, v19, 2.0, -v17
	s_delay_alu instid0(VALU_DEP_3) | instskip(NEXT) | instid1(VALU_DEP_1)
	v_and_b32_e32 v0, 0xffff, v0
	v_lshlrev_b32_e32 v3, 3, v0
	v_fma_f32 v0, v18, 2.0, -v16
	s_delay_alu instid0(VALU_DEP_2)
	v_add3_u32 v2, v2, v3, v27
	ds_store_2addr_b64 v2, v[0:1], v[16:17] offset1:17
.LBB0_16:
	s_wait_alu 0xfffe
	s_or_b32 exec_lo, exec_lo, s1
	v_subrev_nc_u32_e32 v18, 34, v26
	global_wb scope:SCOPE_SE
	s_wait_dscnt 0x0
	s_barrier_signal -1
	s_barrier_wait -1
	global_inv scope:SCOPE_SE
	v_cndmask_b32_e64 v2, v18, v26, s0
	s_delay_alu instid0(VALU_DEP_1) | instskip(SKIP_1) | instid1(VALU_DEP_2)
	v_dual_mov_b32 v20, 0 :: v_dual_lshlrev_b32 v19, 4, v2
	v_lshlrev_b32_e32 v2, 3, v2
	v_lshlrev_b64_e32 v[0:1], 3, v[19:20]
	v_add3_u32 v19, 0, v36, v27
	s_delay_alu instid0(VALU_DEP_2) | instskip(SKIP_1) | instid1(VALU_DEP_3)
	v_add_co_u32 v0, s1, s8, v0
	s_wait_alu 0xf1ff
	v_add_co_ci_u32_e64 v1, s1, s9, v1, s1
	s_clause 0x7
	global_load_b128 v[46:49], v[0:1], off offset:136
	global_load_b128 v[58:61], v[0:1], off offset:152
	;; [unrolled: 1-line block ×8, first 2 shown]
	ds_load_b64 v[13:14], v73
	ds_load_b64 v[22:23], v72
	;; [unrolled: 1-line block ×7, first 2 shown]
	v_add_nc_u32_e32 v3, 0x1000, v66
	v_add_nc_u32_e32 v4, 0x1400, v66
	;; [unrolled: 1-line block ×4, first 2 shown]
	v_cmp_lt_u32_e64 s1, 33, v26
	s_wait_loadcnt_dscnt 0x603
	v_dual_mul_f32 v7, v47, v14 :: v_dual_mul_f32 v50, v54, v61
	v_mul_f32_e32 v57, v47, v13
	v_mul_f32_e32 v9, v49, v23
	;; [unrolled: 1-line block ×4, first 2 shown]
	ds_load_b64 v[120:121], v19
	ds_load_b64 v[0:1], v64
	ds_load_2addr_b64 v[98:101], v3 offset0:100 offset1:168
	ds_load_2addr_b64 v[102:105], v4 offset0:108 offset1:176
	ds_load_2addr_b64 v[106:109], v8 offset0:116 offset1:184
	ds_load_2addr_b64 v[110:113], v12 offset0:124 offset1:192
	v_dual_mul_f32 v56, v49, v22 :: v_dual_mul_f32 v49, v55, v61
	s_wait_loadcnt_dscnt 0x507
	v_dual_mul_f32 v61, v115, v75 :: v_dual_mul_f32 v62, v117, v77
	v_dual_mul_f32 v36, v114, v75 :: v_dual_mul_f32 v15, v116, v77
	s_wait_loadcnt_dscnt 0x406
	v_mul_f32_e32 v75, v119, v79
	v_mul_f32_e32 v10, v118, v79
	v_fma_f32 v59, v48, v22, -v9
	v_fmac_f32_e32 v56, v48, v23
	v_fma_f32 v53, v58, v40, -v47
	v_fma_f32 v51, v54, v60, -v49
	v_fmac_f32_e32 v50, v55, v60
	v_fmac_f32_e32 v52, v58, v41
	s_wait_dscnt 0x5
	v_mul_f32_e32 v77, v121, v81
	s_wait_loadcnt_dscnt 0x303
	v_dual_mul_f32 v5, v120, v81 :: v_dual_mul_f32 v6, v98, v83
	s_wait_loadcnt_dscnt 0x101
	v_dual_mul_f32 v79, v99, v83 :: v_dual_mul_f32 v42, v108, v93
	v_mul_f32_e32 v81, v101, v85
	v_mul_f32_e32 v11, v100, v85
	s_wait_loadcnt_dscnt 0x0
	v_dual_mul_f32 v83, v103, v87 :: v_dual_mul_f32 v44, v112, v97
	v_dual_mul_f32 v21, v102, v87 :: v_dual_fmac_f32 v36, v115, v74
	v_dual_mul_f32 v85, v105, v89 :: v_dual_fmac_f32 v10, v119, v78
	v_dual_mul_f32 v38, v104, v89 :: v_dual_mul_f32 v87, v107, v91
	v_dual_mul_f32 v45, v106, v91 :: v_dual_fmac_f32 v6, v99, v82
	s_delay_alu instid0(VALU_DEP_2)
	v_dual_mul_f32 v91, v111, v95 :: v_dual_fmac_f32 v38, v105, v88
	v_dual_mul_f32 v43, v110, v95 :: v_dual_fmac_f32 v42, v109, v92
	v_fma_f32 v95, v46, v13, -v7
	v_mul_f32_e32 v89, v109, v93
	v_mul_f32_e32 v93, v113, v97
	v_dual_fmac_f32 v57, v46, v14 :: v_dual_fmac_f32 v44, v113, v96
	v_fma_f32 v47, v110, v94, -v91
	v_add_f32_e32 v60, v95, v0
	v_fma_f32 v48, v108, v92, -v89
	v_fma_f32 v46, v112, v96, -v93
	;; [unrolled: 1-line block ×4, first 2 shown]
	v_fmac_f32_e32 v15, v117, v76
	v_fma_f32 v13, v118, v78, -v75
	v_sub_f32_e32 v62, v95, v46
	v_dual_fmac_f32 v21, v103, v86 :: v_dual_sub_f32 v74, v57, v44
	v_dual_fmac_f32 v45, v107, v90 :: v_dual_add_f32 v78, v53, v48
	v_fmac_f32_e32 v43, v111, v94
	v_add_f32_e32 v61, v57, v1
	v_sub_f32_e32 v75, v59, v47
	v_fma_f32 v7, v120, v80, -v77
	v_dual_fmac_f32 v5, v121, v80 :: v_dual_add_f32 v58, v59, v47
	v_fma_f32 v9, v98, v82, -v79
	v_dual_add_f32 v55, v57, v44 :: v_dual_add_f32 v80, v52, v42
	v_dual_sub_f32 v82, v50, v45 :: v_dual_fmac_f32 v11, v101, v84
	v_sub_f32_e32 v76, v56, v43
	v_dual_add_f32 v57, v56, v43 :: v_dual_add_f32 v56, v61, v56
	v_dual_add_f32 v59, v60, v59 :: v_dual_mul_f32 v92, 0xbf763a35, v62
	v_mul_f32_e32 v60, 0xbeb8f4ab, v74
	v_dual_sub_f32 v77, v52, v42 :: v_dual_mul_f32 v98, 0xbf2c7751, v75
	v_mul_f32_e32 v61, 0xbeb8f4ab, v62
	v_fma_f32 v14, v100, v84, -v81
	v_fma_f32 v23, v102, v86, -v83
	s_delay_alu instid0(VALU_DEP_4)
	v_mul_f32_e32 v116, 0xbeb8f4ab, v77
	v_fma_f32 v41, v104, v88, -v85
	v_fma_f32 v49, v106, v90, -v87
	v_dual_add_f32 v54, v95, v46 :: v_dual_sub_f32 v79, v53, v48
	v_mul_f32_e32 v86, 0xbf2c7751, v62
	v_dual_add_f32 v84, v50, v45 :: v_dual_mul_f32 v85, 0xbf2c7751, v74
	v_add_f32_e32 v52, v56, v52
	v_fmamk_f32 v136, v55, 0x3f6eb680, v61
	v_fma_f32 v61, 0x3f6eb680, v55, -v61
	v_dual_sub_f32 v83, v51, v49 :: v_dual_mul_f32 v90, 0xbf7ee86f, v62
	v_dual_mul_f32 v87, 0xbf65296c, v74 :: v_dual_mul_f32 v118, 0xbf65296c, v79
	v_dual_mul_f32 v89, 0xbf7ee86f, v74 :: v_dual_mul_f32 v100, 0xbf7ee86f, v75
	;; [unrolled: 1-line block ×6, first 2 shown]
	v_mul_f32_e32 v127, 0xbe3c28d5, v82
	v_dual_mul_f32 v105, 0x3f06c442, v76 :: v_dual_mul_f32 v106, 0x3f06c442, v75
	v_dual_mul_f32 v107, 0x3f763a35, v76 :: v_dual_mul_f32 v108, 0x3f763a35, v75
	;; [unrolled: 1-line block ×3, first 2 shown]
	v_mul_f32_e32 v75, 0x3eb8f4ab, v75
	v_fma_f32 v135, 0x3f6eb680, v54, -v60
	v_fmac_f32_e32 v60, 0x3f6eb680, v54
	v_mul_f32_e32 v95, 0xbf06c442, v74
	v_fma_f32 v137, 0x3f3d2fb0, v54, -v85
	v_dual_fmamk_f32 v138, v55, 0x3f3d2fb0, v86 :: v_dual_fmac_f32 v85, 0x3f3d2fb0, v54
	v_mul_f32_e32 v97, 0xbf2c7751, v76
	v_dual_mul_f32 v76, 0x3eb8f4ab, v76 :: v_dual_add_f32 v61, v61, v1
	v_dual_mul_f32 v91, 0xbf763a35, v74 :: v_dual_add_f32 v136, v136, v1
	;; [unrolled: 1-line block ×3, first 2 shown]
	v_mul_f32_e32 v88, 0xbf65296c, v62
	v_mul_f32_e32 v96, 0xbf06c442, v62
	v_dual_mul_f32 v62, 0xbe3c28d5, v62 :: v_dual_add_f32 v53, v59, v53
	v_dual_mul_f32 v111, 0xbf65296c, v77 :: v_dual_mul_f32 v134, 0xbf65296c, v83
	v_dual_mul_f32 v112, 0xbf4c4adb, v77 :: v_dual_mul_f32 v119, 0xbf4c4adb, v79
	;; [unrolled: 1-line block ×6, first 2 shown]
	v_mul_f32_e32 v77, 0xbf06c442, v77
	v_fma_f32 v139, 0x3ee437d1, v54, -v87
	v_fma_f32 v141, 0x3dbcf732, v54, -v89
	v_dual_fmamk_f32 v142, v55, 0x3dbcf732, v90 :: v_dual_fmac_f32 v89, 0x3dbcf732, v54
	v_fma_f32 v90, 0x3dbcf732, v55, -v90
	v_fmamk_f32 v144, v55, 0xbe8c1d8e, v92
	v_fma_f32 v145, 0xbf1a4643, v54, -v93
	v_dual_fmamk_f32 v146, v55, 0xbf1a4643, v94 :: v_dual_fmac_f32 v93, 0xbf1a4643, v54
	v_dual_fmamk_f32 v163, v57, 0x3f6eb680, v75 :: v_dual_add_f32 v60, v60, v0
	v_fma_f32 v147, 0xbf59a7d5, v54, -v95
	v_dual_mul_f32 v128, 0xbe3c28d5, v83 :: v_dual_add_f32 v135, v135, v0
	v_fma_f32 v86, 0x3f3d2fb0, v55, -v86
	v_dual_fmamk_f32 v140, v55, 0x3ee437d1, v88 :: v_dual_fmac_f32 v87, 0x3ee437d1, v54
	v_fma_f32 v88, 0x3ee437d1, v55, -v88
	v_fma_f32 v143, 0xbe8c1d8e, v54, -v91
	v_fmac_f32_e32 v91, 0xbe8c1d8e, v54
	v_fma_f32 v92, 0xbe8c1d8e, v55, -v92
	v_fma_f32 v94, 0xbf1a4643, v55, -v94
	v_dual_fmamk_f32 v148, v55, 0xbf59a7d5, v96 :: v_dual_fmac_f32 v95, 0xbf59a7d5, v54
	v_fma_f32 v96, 0xbf59a7d5, v55, -v96
	v_fma_f32 v149, 0xbf7ba420, v54, -v74
	v_fmamk_f32 v150, v55, 0xbf7ba420, v62
	v_dual_fmac_f32 v74, 0xbf7ba420, v54 :: v_dual_add_f32 v137, v137, v0
	v_fma_f32 v54, 0xbf7ba420, v55, -v62
	v_fma_f32 v151, 0x3dbcf732, v58, -v99
	v_dual_fmamk_f32 v152, v57, 0x3dbcf732, v100 :: v_dual_fmac_f32 v99, 0x3dbcf732, v58
	v_fma_f32 v153, 0xbf1a4643, v58, -v101
	v_fmamk_f32 v156, v57, 0xbf7ba420, v104
	v_fma_f32 v104, 0xbf7ba420, v57, -v104
	v_fmamk_f32 v158, v57, 0xbf59a7d5, v106
	v_fma_f32 v159, 0xbe8c1d8e, v58, -v107
	v_dual_fmamk_f32 v160, v57, 0xbe8c1d8e, v108 :: v_dual_fmac_f32 v107, 0xbe8c1d8e, v58
	v_fma_f32 v164, 0xbf1a4643, v78, -v112
	v_dual_fmac_f32 v112, 0xbf1a4643, v78 :: v_dual_add_f32 v85, v85, v0
	v_fma_f32 v168, 0x3f6eb680, v78, -v116
	v_dual_fmac_f32 v116, 0x3f6eb680, v78 :: v_dual_add_f32 v139, v139, v0
	;; [unrolled: 2-line block ×3, first 2 shown]
	v_add_f32_e32 v138, v138, v1
	v_fma_f32 v55, 0x3f3d2fb0, v58, -v97
	v_dual_fmamk_f32 v62, v57, 0x3f3d2fb0, v98 :: v_dual_fmac_f32 v97, 0x3f3d2fb0, v58
	v_fma_f32 v98, 0x3f3d2fb0, v57, -v98
	v_dual_add_f32 v141, v141, v0 :: v_dual_add_f32 v144, v144, v1
	v_add_f32_e32 v93, v93, v0
	v_dual_add_f32 v147, v147, v0 :: v_dual_add_f32 v50, v52, v50
	v_dual_add_f32 v51, v53, v51 :: v_dual_add_f32 v62, v62, v136
	v_dual_mul_f32 v123, 0xbeb8f4ab, v79 :: v_dual_add_f32 v86, v86, v1
	v_dual_mul_f32 v79, 0xbf06c442, v79 :: v_dual_add_f32 v140, v140, v1
	;; [unrolled: 1-line block ×3, first 2 shown]
	v_dual_mul_f32 v129, 0x3f763a35, v82 :: v_dual_mul_f32 v130, 0x3f763a35, v83
	v_dual_mul_f32 v131, 0x3eb8f4ab, v82 :: v_dual_mul_f32 v132, 0x3eb8f4ab, v83
	v_dual_mul_f32 v133, 0xbf65296c, v82 :: v_dual_add_f32 v142, v142, v1
	v_fma_f32 v100, 0x3dbcf732, v57, -v100
	v_dual_fmamk_f32 v154, v57, 0xbf1a4643, v102 :: v_dual_fmac_f32 v101, 0xbf1a4643, v58
	v_fma_f32 v102, 0xbf1a4643, v57, -v102
	v_fma_f32 v155, 0xbf7ba420, v58, -v103
	v_fmac_f32_e32 v103, 0xbf7ba420, v58
	v_fma_f32 v157, 0xbf59a7d5, v58, -v105
	v_fmac_f32_e32 v105, 0xbf59a7d5, v58
	v_fma_f32 v106, 0xbf59a7d5, v57, -v106
	v_fma_f32 v108, 0xbe8c1d8e, v57, -v108
	;; [unrolled: 1-line block ×3, first 2 shown]
	v_fmac_f32_e32 v109, 0x3ee437d1, v58
	v_fma_f32 v162, 0x3f6eb680, v58, -v76
	v_dual_fmac_f32 v76, 0x3f6eb680, v58 :: v_dual_fmamk_f32 v173, v80, 0x3f6eb680, v123
	v_fmamk_f32 v58, v57, 0x3ee437d1, v110
	v_fma_f32 v110, 0x3ee437d1, v57, -v110
	v_fma_f32 v57, 0x3f6eb680, v57, -v75
	;; [unrolled: 1-line block ×3, first 2 shown]
	v_dual_fmac_f32 v111, 0x3ee437d1, v78 :: v_dual_fmamk_f32 v56, v80, 0x3ee437d1, v118
	v_fma_f32 v165, 0xbf7ba420, v78, -v113
	v_fmac_f32_e32 v113, 0xbf7ba420, v78
	v_fma_f32 v166, 0xbe8c1d8e, v78, -v114
	v_dual_fmac_f32 v114, 0xbe8c1d8e, v78 :: v_dual_fmamk_f32 v171, v80, 0xbe8c1d8e, v121
	v_fma_f32 v167, 0x3f3d2fb0, v78, -v115
	v_dual_fmac_f32 v115, 0x3f3d2fb0, v78 :: v_dual_fmamk_f32 v172, v80, 0x3f3d2fb0, v122
	v_fma_f32 v169, 0x3dbcf732, v78, -v117
	v_dual_fmac_f32 v117, 0x3dbcf732, v78 :: v_dual_fmamk_f32 v174, v80, 0x3dbcf732, v124
	v_fma_f32 v59, 0x3ee437d1, v80, -v118
	v_dual_fmamk_f32 v78, v80, 0xbf1a4643, v119 :: v_dual_add_f32 v87, v87, v0
	v_dual_add_f32 v89, v89, v0 :: v_dual_add_f32 v92, v92, v1
	v_dual_add_f32 v143, v143, v0 :: v_dual_add_f32 v148, v148, v1
	;; [unrolled: 1-line block ×4, first 2 shown]
	v_dual_add_f32 v95, v95, v0 :: v_dual_fmamk_f32 v52, v84, 0xbe8c1d8e, v130
	v_dual_add_f32 v149, v149, v0 :: v_dual_fmamk_f32 v136, v84, 0x3f6eb680, v132
	v_add_f32_e32 v0, v74, v0
	v_dual_fmamk_f32 v74, v84, 0xbf7ba420, v128 :: v_dual_add_f32 v61, v98, v61
	v_dual_add_f32 v85, v99, v85 :: v_dual_add_f32 v90, v104, v90
	v_dual_add_f32 v99, v153, v139 :: v_dual_add_f32 v104, v158, v144
	v_dual_add_f32 v93, v107, v93 :: v_dual_add_f32 v50, v50, v36
	v_add_f32_e32 v51, v51, v40
	v_fma_f32 v118, 0xbf1a4643, v80, -v119
	v_dual_fmamk_f32 v119, v80, 0xbf7ba420, v120 :: v_dual_add_f32 v146, v146, v1
	v_fma_f32 v122, 0x3f3d2fb0, v80, -v122
	v_dual_fmamk_f32 v175, v80, 0xbf59a7d5, v79 :: v_dual_add_f32 v94, v94, v1
	v_dual_add_f32 v1, v54, v1 :: v_dual_add_f32 v60, v97, v60
	v_fma_f32 v54, 0xbf7ba420, v81, -v127
	v_fmac_f32_e32 v127, 0xbf7ba420, v81
	v_add_f32_e32 v55, v55, v135
	v_fma_f32 v135, 0x3f6eb680, v81, -v131
	v_dual_fmac_f32 v131, 0x3f6eb680, v81 :: v_dual_add_f32 v88, v102, v88
	v_dual_add_f32 v87, v101, v87 :: v_dual_add_f32 v92, v106, v92
	v_dual_add_f32 v102, v156, v142 :: v_dual_add_f32 v91, v105, v91
	;; [unrolled: 1-line block ×4, first 2 shown]
	v_add_f32_e32 v50, v50, v15
	v_dual_add_f32 v76, v165, v99 :: v_dual_add_f32 v51, v51, v22
	v_dual_add_f32 v92, v122, v92 :: v_dual_add_f32 v101, v155, v141
	;; [unrolled: 1-line block ×4, first 2 shown]
	v_add_f32_e32 v58, v58, v148
	v_dual_add_f32 v99, v172, v104 :: v_dual_add_f32 v50, v50, v10
	v_add_f32_e32 v51, v51, v13
	v_fma_f32 v123, 0x3f6eb680, v80, -v123
	s_delay_alu instid0(VALU_DEP_4)
	v_add_f32_e32 v58, v174, v58
	v_fma_f32 v124, 0x3dbcf732, v80, -v124
	v_dual_add_f32 v95, v109, v95 :: v_dual_add_f32 v56, v56, v62
	v_dual_add_f32 v109, v163, v150 :: v_dual_add_f32 v62, v112, v85
	v_add_f32_e32 v85, v113, v87
	v_dual_add_f32 v87, v166, v101 :: v_dual_add_f32 v94, v123, v94
	v_dual_add_f32 v101, v173, v106 :: v_dual_add_f32 v50, v50, v5
	;; [unrolled: 1-line block ×3, first 2 shown]
	v_add_f32_e32 v93, v116, v93
	v_fma_f32 v120, 0xbf7ba420, v80, -v120
	s_delay_alu instid0(VALU_DEP_3) | instskip(SKIP_3) | instid1(VALU_DEP_4)
	v_dual_add_f32 v50, v50, v6 :: v_dual_add_f32 v51, v51, v9
	v_fma_f32 v121, 0xbe8c1d8e, v80, -v121
	v_fma_f32 v79, 0xbf59a7d5, v80, -v79
	;; [unrolled: 1-line block ×3, first 2 shown]
	v_add_f32_e32 v50, v50, v11
	v_dual_fmamk_f32 v176, v84, 0x3dbcf732, v126 :: v_dual_fmac_f32 v125, 0x3dbcf732, v81
	v_fma_f32 v53, 0xbe8c1d8e, v81, -v129
	v_dual_fmac_f32 v129, 0xbe8c1d8e, v81 :: v_dual_add_f32 v86, v100, v86
	v_dual_add_f32 v98, v151, v137 :: v_dual_add_f32 v137, v152, v138
	v_dual_add_f32 v100, v154, v140 :: v_dual_add_f32 v107, v161, v147
	v_add_f32_e32 v108, v162, v149
	v_add_f32_e32 v1, v57, v1
	;; [unrolled: 1-line block ×3, first 2 shown]
	v_fma_f32 v126, 0x3dbcf732, v84, -v126
	v_add_f32_e32 v55, v75, v55
	v_dual_add_f32 v57, v111, v60 :: v_dual_add_f32 v90, v121, v90
	v_dual_add_f32 v60, v164, v98 :: v_dual_add_f32 v61, v78, v137
	;; [unrolled: 1-line block ×4, first 2 shown]
	s_delay_alu instid0(VALU_DEP_3) | instskip(NEXT) | instid1(VALU_DEP_3)
	v_dual_add_f32 v79, v79, v1 :: v_dual_add_f32 v54, v54, v60
	v_dual_add_f32 v1, v50, v21 :: v_dual_add_f32 v52, v52, v78
	v_add_f32_e32 v50, v176, v56
	v_dual_add_f32 v103, v170, v108 :: v_dual_add_f32 v0, v51, v23
	s_delay_alu instid0(VALU_DEP_3)
	v_add_f32_e32 v1, v1, v38
	v_fma_f32 v130, 0xbe8c1d8e, v84, -v130
	v_add_f32_e32 v86, v120, v88
	v_add_f32_e32 v56, v126, v59
	v_dual_add_f32 v0, v0, v41 :: v_dual_add_f32 v59, v127, v62
	v_add_f32_e32 v1, v1, v45
	v_fma_f32 v128, 0xbf7ba420, v84, -v128
	v_fma_f32 v62, 0x3ee437d1, v84, -v134
	s_delay_alu instid0(VALU_DEP_4)
	v_add_f32_e32 v0, v0, v49
	v_add_f32_e32 v51, v125, v57
	v_fma_f32 v132, 0x3f6eb680, v84, -v132
	v_add_f32_e32 v45, v128, v75
	v_add_f32_e32 v49, v53, v76
	;; [unrolled: 1-line block ×6, first 2 shown]
	s_delay_alu instid0(VALU_DEP_4) | instskip(SKIP_1) | instid1(VALU_DEP_3)
	v_dual_add_f32 v57, v74, v61 :: v_dual_add_f32 v0, v0, v47
	v_dual_add_f32 v53, v135, v87 :: v_dual_add_f32 v62, v62, v92
	v_dual_add_f32 v1, v1, v43 :: v_dual_mul_f32 v78, 0x3f4c4adb, v82
	s_delay_alu instid0(VALU_DEP_3) | instskip(SKIP_1) | instid1(VALU_DEP_3)
	v_add_f32_e32 v0, v0, v46
	v_mul_f32_e32 v46, 0xbf06c442, v82
	v_dual_add_f32 v88, v171, v102 :: v_dual_add_f32 v1, v1, v44
	v_dual_add_f32 v89, v114, v89 :: v_dual_add_f32 v102, v169, v107
	;; [unrolled: 1-line block ×3, first 2 shown]
	s_delay_alu instid0(VALU_DEP_4) | instskip(SKIP_4) | instid1(VALU_DEP_4)
	v_fma_f32 v74, 0xbf59a7d5, v81, -v46
	v_fma_f32 v85, 0xbf1a4643, v81, -v78
	v_fmac_f32_e32 v46, 0xbf59a7d5, v81
	v_mul_f32_e32 v86, 0x3f4c4adb, v83
	v_dual_fmamk_f32 v44, v84, 0x3ee437d1, v134 :: v_dual_add_f32 v47, v131, v89
	v_add_f32_e32 v85, v85, v102
	v_mul_f32_e32 v82, 0x3f2c7751, v82
	v_dual_sub_f32 v89, v36, v38 :: v_dual_add_f32 v46, v46, v93
	v_fmamk_f32 v87, v84, 0xbf1a4643, v86
	v_fma_f32 v97, 0x3ee437d1, v81, -v133
	v_dual_add_f32 v95, v117, v95 :: v_dual_add_f32 v104, v175, v109
	s_delay_alu instid0(VALU_DEP_3)
	v_dual_fmac_f32 v133, 0x3ee437d1, v81 :: v_dual_add_f32 v58, v87, v58
	v_mul_f32_e32 v75, 0xbf06c442, v83
	v_mul_f32_e32 v83, 0x3f2c7751, v83
	v_fma_f32 v87, 0x3f3d2fb0, v81, -v82
	v_fmac_f32_e32 v78, 0xbf1a4643, v81
	v_add_f32_e32 v90, v40, v41
	v_sub_f32_e32 v40, v40, v41
	v_mul_f32_e32 v41, 0xbf763a35, v89
	v_add_f32_e32 v87, v87, v103
	v_add_f32_e32 v78, v78, v95
	v_dual_add_f32 v91, v115, v91 :: v_dual_add_f32 v100, v168, v105
	v_dual_add_f32 v43, v136, v88 :: v_dual_fmac_f32 v82, 0x3f3d2fb0, v81
	v_fmamk_f32 v88, v84, 0x3f3d2fb0, v83
	v_fma_f32 v81, 0x3f3d2fb0, v84, -v83
	v_fma_f32 v83, 0xbe8c1d8e, v90, -v41
	;; [unrolled: 1-line block ×3, first 2 shown]
	v_add_f32_e32 v76, v133, v91
	s_delay_alu instid0(VALU_DEP_4) | instskip(NEXT) | instid1(VALU_DEP_4)
	v_dual_fmamk_f32 v80, v84, 0xbf59a7d5, v75 :: v_dual_add_f32 v79, v81, v79
	v_add_f32_e32 v55, v83, v55
	s_delay_alu instid0(VALU_DEP_4) | instskip(SKIP_1) | instid1(VALU_DEP_2)
	v_dual_fmac_f32 v41, 0xbe8c1d8e, v90 :: v_dual_add_f32 v86, v86, v96
	v_dual_mul_f32 v81, 0x3f06c442, v89 :: v_dual_add_f32 v36, v36, v38
	v_dual_add_f32 v80, v80, v101 :: v_dual_add_f32 v41, v41, v51
	v_dual_add_f32 v77, v82, v77 :: v_dual_add_f32 v88, v88, v104
	s_delay_alu instid0(VALU_DEP_3) | instskip(SKIP_3) | instid1(VALU_DEP_4)
	v_fma_f32 v83, 0xbf59a7d5, v90, -v81
	v_mul_f32_e32 v38, 0xbf763a35, v40
	v_fmac_f32_e32 v81, 0xbf59a7d5, v90
	v_fma_f32 v75, 0xbf59a7d5, v84, -v75
	v_dual_add_f32 v44, v44, v99 :: v_dual_add_f32 v51, v83, v54
	v_dual_mul_f32 v54, 0x3f2c7751, v89 :: v_dual_mul_f32 v83, 0x3f2c7751, v40
	v_fmamk_f32 v82, v36, 0xbe8c1d8e, v38
	v_fma_f32 v38, 0xbe8c1d8e, v36, -v38
	v_dual_add_f32 v61, v97, v98 :: v_dual_add_f32 v74, v74, v100
	s_delay_alu instid0(VALU_DEP_4) | instskip(NEXT) | instid1(VALU_DEP_4)
	v_fma_f32 v84, 0x3f3d2fb0, v90, -v54
	v_add_f32_e32 v50, v82, v50
	v_mul_f32_e32 v82, 0x3f06c442, v40
	v_dual_add_f32 v38, v38, v56 :: v_dual_add_f32 v75, v75, v94
	s_delay_alu instid0(VALU_DEP_4)
	v_add_f32_e32 v49, v84, v49
	global_wb scope:SCOPE_SE
	v_fmamk_f32 v56, v36, 0xbf59a7d5, v82
	v_fma_f32 v82, 0xbf59a7d5, v36, -v82
	s_barrier_signal -1
	s_barrier_wait -1
	global_inv scope:SCOPE_SE
	v_add_f32_e32 v45, v82, v45
	v_dual_add_f32 v56, v56, v57 :: v_dual_add_f32 v57, v81, v59
	v_fmamk_f32 v59, v36, 0x3f3d2fb0, v83
	v_mul_f32_e32 v81, 0xbf65296c, v89
	v_fma_f32 v82, 0x3f3d2fb0, v36, -v83
	s_delay_alu instid0(VALU_DEP_3) | instskip(SKIP_1) | instid1(VALU_DEP_4)
	v_add_f32_e32 v52, v59, v52
	v_mul_f32_e32 v59, 0xbf65296c, v40
	v_fma_f32 v83, 0x3ee437d1, v90, -v81
	s_delay_alu instid0(VALU_DEP_4) | instskip(NEXT) | instid1(VALU_DEP_2)
	v_dual_fmac_f32 v81, 0x3ee437d1, v90 :: v_dual_add_f32 v48, v82, v48
	v_dual_fmamk_f32 v82, v36, 0x3ee437d1, v59 :: v_dual_add_f32 v53, v83, v53
	s_delay_alu instid0(VALU_DEP_2) | instskip(NEXT) | instid1(VALU_DEP_2)
	v_add_f32_e32 v47, v81, v47
	v_dual_add_f32 v43, v82, v43 :: v_dual_fmac_f32 v54, 0x3f3d2fb0, v90
	v_mul_f32_e32 v82, 0xbe3c28d5, v40
	s_delay_alu instid0(VALU_DEP_2) | instskip(SKIP_2) | instid1(VALU_DEP_4)
	v_add_f32_e32 v42, v54, v42
	v_fma_f32 v59, 0x3ee437d1, v36, -v59
	v_mul_f32_e32 v54, 0xbe3c28d5, v89
	v_fmamk_f32 v81, v36, 0xbf7ba420, v82
	v_fma_f32 v82, 0xbf7ba420, v36, -v82
	s_delay_alu instid0(VALU_DEP_4) | instskip(NEXT) | instid1(VALU_DEP_4)
	v_add_f32_e32 v59, v59, v60
	v_fma_f32 v83, 0xbf7ba420, v90, -v54
	s_delay_alu instid0(VALU_DEP_4) | instskip(NEXT) | instid1(VALU_DEP_4)
	v_add_f32_e32 v44, v81, v44
	v_dual_add_f32 v62, v82, v62 :: v_dual_mul_f32 v81, 0xbeb8f4ab, v89
	s_delay_alu instid0(VALU_DEP_3) | instskip(SKIP_2) | instid1(VALU_DEP_2)
	v_add_f32_e32 v60, v83, v61
	v_mul_f32_e32 v61, 0x3f7ee86f, v89
	v_mul_f32_e32 v83, 0x3f7ee86f, v40
	v_fma_f32 v84, 0x3dbcf732, v90, -v61
	v_fmac_f32_e32 v61, 0x3dbcf732, v90
	s_delay_alu instid0(VALU_DEP_3) | instskip(SKIP_1) | instid1(VALU_DEP_4)
	v_fma_f32 v82, 0x3dbcf732, v36, -v83
	v_fmac_f32_e32 v54, 0xbf7ba420, v90
	v_add_f32_e32 v74, v84, v74
	s_delay_alu instid0(VALU_DEP_3) | instskip(NEXT) | instid1(VALU_DEP_3)
	v_dual_add_f32 v46, v61, v46 :: v_dual_add_f32 v61, v82, v75
	v_add_f32_e32 v54, v54, v76
	v_fmamk_f32 v76, v36, 0x3dbcf732, v83
	v_fma_f32 v83, 0x3f6eb680, v90, -v81
	v_mul_f32_e32 v75, 0xbf4c4adb, v89
	v_fmac_f32_e32 v81, 0x3f6eb680, v90
	s_delay_alu instid0(VALU_DEP_3) | instskip(SKIP_4) | instid1(VALU_DEP_1)
	v_add_f32_e32 v83, v83, v85
	v_dual_sub_f32 v85, v22, v23 :: v_dual_add_f32 v76, v76, v80
	v_mul_f32_e32 v80, 0xbeb8f4ab, v40
	v_fma_f32 v84, 0xbf1a4643, v90, -v75
	v_dual_fmac_f32 v75, 0xbf1a4643, v90 :: v_dual_add_f32 v22, v22, v23
	v_dual_fmamk_f32 v82, v36, 0x3f6eb680, v80 :: v_dual_add_f32 v75, v75, v77
	s_delay_alu instid0(VALU_DEP_1) | instskip(SKIP_4) | instid1(VALU_DEP_4)
	v_add_f32_e32 v58, v82, v58
	v_sub_f32_e32 v82, v15, v21
	v_dual_mul_f32 v40, 0xbf4c4adb, v40 :: v_dual_add_f32 v15, v15, v21
	v_dual_mul_f32 v21, 0xbf4c4adb, v85 :: v_dual_add_f32 v78, v81, v78
	v_add_f32_e32 v81, v84, v87
	v_mul_f32_e32 v23, 0xbf4c4adb, v82
	s_delay_alu instid0(VALU_DEP_4)
	v_fmamk_f32 v84, v36, 0xbf1a4643, v40
	v_fma_f32 v80, 0x3f6eb680, v36, -v80
	v_fma_f32 v36, 0xbf1a4643, v36, -v40
	v_fmamk_f32 v77, v15, 0xbf1a4643, v21
	v_fma_f32 v21, 0xbf1a4643, v15, -v21
	v_add_f32_e32 v40, v84, v88
	v_fma_f32 v84, 0xbf1a4643, v22, -v23
	v_dual_add_f32 v36, v36, v79 :: v_dual_fmac_f32 v23, 0xbf1a4643, v22
	s_delay_alu instid0(VALU_DEP_4) | instskip(SKIP_1) | instid1(VALU_DEP_4)
	v_add_f32_e32 v21, v21, v38
	v_add_f32_e32 v80, v80, v86
	v_add_f32_e32 v55, v84, v55
	v_mul_f32_e32 v79, 0x3f763a35, v82
	v_add_f32_e32 v23, v23, v41
	v_mul_f32_e32 v84, 0x3f763a35, v85
	v_add_f32_e32 v50, v77, v50
	v_mul_f32_e32 v86, 0xbeb8f4ab, v85
	v_fma_f32 v77, 0xbe8c1d8e, v22, -v79
	v_fmac_f32_e32 v79, 0xbe8c1d8e, v22
	s_delay_alu instid0(VALU_DEP_2) | instskip(SKIP_3) | instid1(VALU_DEP_3)
	v_add_f32_e32 v41, v77, v51
	v_fmamk_f32 v51, v15, 0xbe8c1d8e, v84
	v_mul_f32_e32 v38, 0xbeb8f4ab, v82
	v_fma_f32 v77, 0xbe8c1d8e, v15, -v84
	v_add_f32_e32 v51, v51, v56
	s_delay_alu instid0(VALU_DEP_3) | instskip(SKIP_1) | instid1(VALU_DEP_4)
	v_fma_f32 v84, 0x3f6eb680, v22, -v38
	v_add_f32_e32 v56, v79, v57
	v_dual_add_f32 v45, v77, v45 :: v_dual_fmac_f32 v38, 0x3f6eb680, v22
	v_fma_f32 v79, 0x3f6eb680, v15, -v86
	s_delay_alu instid0(VALU_DEP_4) | instskip(SKIP_1) | instid1(VALU_DEP_4)
	v_add_f32_e32 v49, v84, v49
	v_dual_mul_f32 v84, 0xbf06c442, v85 :: v_dual_mul_f32 v77, 0xbf06c442, v82
	v_add_f32_e32 v38, v38, v42
	s_delay_alu instid0(VALU_DEP_4) | instskip(NEXT) | instid1(VALU_DEP_3)
	v_dual_add_f32 v42, v79, v48 :: v_dual_mul_f32 v79, 0x3f7ee86f, v82
	v_fmamk_f32 v48, v15, 0xbf59a7d5, v84
	s_delay_alu instid0(VALU_DEP_1) | instskip(NEXT) | instid1(VALU_DEP_3)
	v_add_f32_e32 v43, v48, v43
	v_fma_f32 v48, 0x3dbcf732, v22, -v79
	v_fmamk_f32 v57, v15, 0x3f6eb680, v86
	v_fmac_f32_e32 v79, 0x3dbcf732, v22
	v_mul_f32_e32 v86, 0xbf2c7751, v85
	s_delay_alu instid0(VALU_DEP_4) | instskip(NEXT) | instid1(VALU_DEP_4)
	v_add_f32_e32 v48, v48, v60
	v_add_f32_e32 v52, v57, v52
	v_fma_f32 v57, 0xbf59a7d5, v22, -v77
	v_fmac_f32_e32 v77, 0xbf59a7d5, v22
	v_dual_add_f32 v54, v79, v54 :: v_dual_mul_f32 v79, 0xbe3c28d5, v85
	s_delay_alu instid0(VALU_DEP_3) | instskip(NEXT) | instid1(VALU_DEP_3)
	v_add_f32_e32 v53, v57, v53
	v_add_f32_e32 v47, v77, v47
	v_fma_f32 v57, 0xbf59a7d5, v15, -v84
	s_delay_alu instid0(VALU_DEP_1) | instskip(SKIP_1) | instid1(VALU_DEP_2)
	v_dual_mul_f32 v84, 0x3f7ee86f, v85 :: v_dual_add_f32 v57, v57, v59
	v_mul_f32_e32 v59, 0xbf2c7751, v82
	v_fmamk_f32 v60, v15, 0x3dbcf732, v84
	v_fma_f32 v77, 0x3dbcf732, v15, -v84
	s_delay_alu instid0(VALU_DEP_3) | instskip(NEXT) | instid1(VALU_DEP_3)
	v_fma_f32 v84, 0x3f3d2fb0, v22, -v59
	v_add_f32_e32 v44, v60, v44
	s_delay_alu instid0(VALU_DEP_3) | instskip(SKIP_1) | instid1(VALU_DEP_4)
	v_add_f32_e32 v60, v77, v62
	v_fmac_f32_e32 v59, 0x3f3d2fb0, v22
	v_add_f32_e32 v62, v84, v74
	v_fmamk_f32 v74, v15, 0x3f3d2fb0, v86
	v_mul_f32_e32 v77, 0xbe3c28d5, v82
	v_fma_f32 v84, 0x3f3d2fb0, v15, -v86
	v_add_f32_e32 v46, v59, v46
	s_delay_alu instid0(VALU_DEP_4) | instskip(NEXT) | instid1(VALU_DEP_4)
	v_dual_fmamk_f32 v59, v15, 0xbf7ba420, v79 :: v_dual_add_f32 v74, v74, v76
	v_fma_f32 v76, 0xbf7ba420, v22, -v77
	s_delay_alu instid0(VALU_DEP_4) | instskip(SKIP_1) | instid1(VALU_DEP_4)
	v_add_f32_e32 v61, v84, v61
	v_fmac_f32_e32 v77, 0xbf7ba420, v22
	v_add_f32_e32 v58, v59, v58
	v_fma_f32 v59, 0xbf7ba420, v15, -v79
	v_mul_f32_e32 v82, 0x3f65296c, v82
	v_dual_add_f32 v76, v76, v83 :: v_dual_mul_f32 v83, 0x3f65296c, v85
	v_dual_add_f32 v77, v77, v78 :: v_dual_sub_f32 v78, v10, v11
	s_delay_alu instid0(VALU_DEP_4) | instskip(NEXT) | instid1(VALU_DEP_4)
	v_add_f32_e32 v59, v59, v80
	v_fma_f32 v79, 0x3ee437d1, v22, -v82
	s_delay_alu instid0(VALU_DEP_4) | instskip(SKIP_1) | instid1(VALU_DEP_3)
	v_fmamk_f32 v80, v15, 0x3ee437d1, v83
	v_add_f32_e32 v10, v10, v11
	v_dual_mul_f32 v84, 0xbf06c442, v78 :: v_dual_add_f32 v79, v79, v81
	v_add_f32_e32 v81, v13, v14
	v_sub_f32_e32 v13, v13, v14
	v_fma_f32 v14, 0x3ee437d1, v15, -v83
	v_add_f32_e32 v83, v7, v9
	v_sub_f32_e32 v7, v7, v9
	v_fma_f32 v11, 0xbf59a7d5, v81, -v84
	v_fmac_f32_e32 v82, 0x3ee437d1, v22
	v_dual_mul_f32 v15, 0xbf06c442, v13 :: v_dual_add_f32 v22, v80, v40
	v_fmac_f32_e32 v84, 0xbf59a7d5, v81
	s_delay_alu instid0(VALU_DEP_4) | instskip(NEXT) | instid1(VALU_DEP_4)
	v_dual_add_f32 v14, v14, v36 :: v_dual_add_f32 v11, v11, v55
	v_dual_add_f32 v40, v82, v75 :: v_dual_mul_f32 v75, 0x3f65296c, v13
	s_delay_alu instid0(VALU_DEP_4) | instskip(SKIP_3) | instid1(VALU_DEP_2)
	v_fmamk_f32 v36, v10, 0xbf59a7d5, v15
	v_mul_f32_e32 v55, 0x3f65296c, v78
	v_fma_f32 v15, 0xbf59a7d5, v10, -v15
	v_mul_f32_e32 v82, 0x3f4c4adb, v13
	v_dual_add_f32 v15, v15, v21 :: v_dual_add_f32 v36, v36, v50
	v_fmamk_f32 v21, v10, 0x3ee437d1, v75
	v_fma_f32 v50, 0x3ee437d1, v81, -v55
	s_delay_alu instid0(VALU_DEP_2) | instskip(NEXT) | instid1(VALU_DEP_2)
	v_dual_mul_f32 v80, 0xbf7ee86f, v78 :: v_dual_add_f32 v51, v21, v51
	v_add_f32_e32 v41, v50, v41
	v_fma_f32 v50, 0x3ee437d1, v10, -v75
	s_delay_alu instid0(VALU_DEP_3) | instskip(SKIP_3) | instid1(VALU_DEP_3)
	v_fma_f32 v21, 0x3dbcf732, v81, -v80
	v_fmac_f32_e32 v80, 0x3dbcf732, v81
	v_mul_f32_e32 v75, 0xbf7ee86f, v13
	v_add_f32_e32 v23, v84, v23
	v_dual_add_f32 v49, v21, v49 :: v_dual_add_f32 v38, v80, v38
	s_delay_alu instid0(VALU_DEP_3) | instskip(SKIP_2) | instid1(VALU_DEP_3)
	v_fmamk_f32 v21, v10, 0x3dbcf732, v75
	v_fmac_f32_e32 v55, 0x3ee437d1, v81
	v_mul_f32_e32 v80, 0xbeb8f4ab, v13
	v_add_f32_e32 v52, v21, v52
	s_delay_alu instid0(VALU_DEP_3) | instskip(SKIP_2) | instid1(VALU_DEP_2)
	v_add_f32_e32 v55, v55, v56
	v_fma_f32 v56, 0x3dbcf732, v10, -v75
	v_dual_add_f32 v45, v50, v45 :: v_dual_mul_f32 v50, 0x3f4c4adb, v78
	v_dual_fmamk_f32 v21, v10, 0xbf1a4643, v82 :: v_dual_add_f32 v56, v56, v42
	v_mul_f32_e32 v42, 0xbeb8f4ab, v78
	s_delay_alu instid0(VALU_DEP_3) | instskip(SKIP_1) | instid1(VALU_DEP_2)
	v_fma_f32 v75, 0xbf1a4643, v81, -v50
	v_fmac_f32_e32 v50, 0xbf1a4643, v81
	v_add_f32_e32 v53, v75, v53
	v_fma_f32 v75, 0xbf1a4643, v10, -v82
	v_add_f32_e32 v82, v21, v43
	v_fma_f32 v21, 0x3f6eb680, v81, -v42
	v_add_f32_e32 v47, v50, v47
	s_delay_alu instid0(VALU_DEP_4) | instskip(NEXT) | instid1(VALU_DEP_3)
	v_dual_fmamk_f32 v43, v10, 0x3f6eb680, v80 :: v_dual_add_f32 v50, v75, v57
	v_dual_mul_f32 v57, 0xbe3c28d5, v78 :: v_dual_add_f32 v48, v21, v48
	v_fma_f32 v21, 0x3f6eb680, v10, -v80
	s_delay_alu instid0(VALU_DEP_3) | instskip(SKIP_1) | instid1(VALU_DEP_4)
	v_dual_fmac_f32 v42, 0x3f6eb680, v81 :: v_dual_add_f32 v75, v43, v44
	v_mul_f32_e32 v44, 0xbe3c28d5, v13
	v_fma_f32 v43, 0xbf7ba420, v81, -v57
	s_delay_alu instid0(VALU_DEP_4) | instskip(NEXT) | instid1(VALU_DEP_4)
	v_dual_add_f32 v60, v21, v60 :: v_dual_mul_f32 v21, 0x3f2c7751, v78
	v_dual_add_f32 v54, v42, v54 :: v_dual_fmac_f32 v57, 0xbf7ba420, v81
	s_delay_alu instid0(VALU_DEP_3)
	v_add_f32_e32 v62, v43, v62
	v_fma_f32 v43, 0xbf7ba420, v10, -v44
	v_fmamk_f32 v42, v10, 0xbf7ba420, v44
	v_fma_f32 v44, 0x3f3d2fb0, v81, -v21
	v_mul_f32_e32 v80, 0x3f2c7751, v13
	v_mul_f32_e32 v13, 0xbf763a35, v13
	s_delay_alu instid0(VALU_DEP_4) | instskip(NEXT) | instid1(VALU_DEP_4)
	v_dual_add_f32 v61, v43, v61 :: v_dual_add_f32 v74, v42, v74
	v_dual_add_f32 v76, v44, v76 :: v_dual_mul_f32 v43, 0xbf763a35, v78
	s_delay_alu instid0(VALU_DEP_4) | instskip(SKIP_2) | instid1(VALU_DEP_3)
	v_dual_fmamk_f32 v42, v10, 0x3f3d2fb0, v80 :: v_dual_fmac_f32 v21, 0x3f3d2fb0, v81
	v_sub_f32_e32 v78, v5, v6
	v_dual_add_f32 v57, v57, v46 :: v_dual_fmamk_f32 v46, v10, 0xbe8c1d8e, v13
	v_dual_add_f32 v58, v42, v58 :: v_dual_add_f32 v77, v21, v77
	v_fma_f32 v42, 0xbe8c1d8e, v81, -v43
	s_delay_alu instid0(VALU_DEP_4) | instskip(SKIP_2) | instid1(VALU_DEP_4)
	v_mul_f32_e32 v9, 0xbe3c28d5, v78
	v_fmac_f32_e32 v43, 0xbe8c1d8e, v81
	v_dual_add_f32 v81, v5, v6 :: v_dual_mul_f32 v6, 0xbe3c28d5, v7
	v_add_f32_e32 v79, v42, v79
	v_fma_f32 v44, 0x3f3d2fb0, v10, -v80
	v_add_f32_e32 v80, v46, v22
	v_fma_f32 v10, 0xbe8c1d8e, v10, -v13
	v_fma_f32 v5, 0xbf7ba420, v83, -v9
	v_dual_add_f32 v84, v43, v40 :: v_dual_fmac_f32 v9, 0xbf7ba420, v83
	v_add_f32_e32 v59, v44, v59
	s_delay_alu instid0(VALU_DEP_4) | instskip(SKIP_3) | instid1(VALU_DEP_4)
	v_dual_add_f32 v85, v10, v14 :: v_dual_fmamk_f32 v10, v81, 0xbf7ba420, v6
	v_mul_f32_e32 v13, 0x3eb8f4ab, v78
	v_add_f32_e32 v5, v5, v11
	v_fma_f32 v11, 0xbf7ba420, v81, -v6
	v_add_f32_e32 v6, v10, v36
	s_delay_alu instid0(VALU_DEP_4) | instskip(SKIP_1) | instid1(VALU_DEP_4)
	v_fma_f32 v14, 0x3f6eb680, v83, -v13
	v_mul_f32_e32 v10, 0x3eb8f4ab, v7
	v_dual_add_f32 v22, v11, v15 :: v_dual_mul_f32 v11, 0xbf06c442, v78
	v_fmac_f32_e32 v13, 0x3f6eb680, v83
	s_delay_alu instid0(VALU_DEP_2) | instskip(SKIP_2) | instid1(VALU_DEP_3)
	v_fma_f32 v36, 0xbf59a7d5, v83, -v11
	v_add_f32_e32 v21, v9, v23
	v_dual_add_f32 v9, v14, v41 :: v_dual_fmamk_f32 v14, v81, 0x3f6eb680, v10
	v_dual_add_f32 v13, v13, v55 :: v_dual_add_f32 v40, v36, v49
	v_mul_f32_e32 v36, 0x3f2c7751, v78
	v_fma_f32 v15, 0x3f6eb680, v81, -v10
	s_delay_alu instid0(VALU_DEP_2) | instskip(SKIP_2) | instid1(VALU_DEP_3)
	v_fma_f32 v44, 0x3f3d2fb0, v83, -v36
	v_fmac_f32_e32 v11, 0xbf59a7d5, v83
	v_fmac_f32_e32 v36, 0x3f3d2fb0, v83
	v_dual_add_f32 v44, v44, v53 :: v_dual_mul_f32 v23, 0xbf06c442, v7
	s_delay_alu instid0(VALU_DEP_3) | instskip(SKIP_2) | instid1(VALU_DEP_4)
	v_add_f32_e32 v42, v11, v38
	v_add_f32_e32 v10, v14, v51
	v_dual_add_f32 v14, v15, v45 :: v_dual_mul_f32 v11, 0xbf4c4adb, v78
	v_fmamk_f32 v15, v81, 0xbf59a7d5, v23
	v_fma_f32 v23, 0xbf59a7d5, v81, -v23
	v_add_f32_e32 v46, v36, v47
	s_delay_alu instid0(VALU_DEP_4) | instskip(NEXT) | instid1(VALU_DEP_4)
	v_fma_f32 v38, 0xbf1a4643, v83, -v11
	v_add_f32_e32 v41, v15, v52
	v_mul_f32_e32 v15, 0x3f2c7751, v7
	v_add_f32_e32 v43, v23, v56
	s_delay_alu instid0(VALU_DEP_4) | instskip(SKIP_1) | instid1(VALU_DEP_4)
	v_dual_fmac_f32 v11, 0xbf1a4643, v83 :: v_dual_add_f32 v48, v38, v48
	v_mul_f32_e32 v38, 0x3f65296c, v7
	v_fmamk_f32 v23, v81, 0x3f3d2fb0, v15
	v_fma_f32 v15, 0x3f3d2fb0, v81, -v15
	s_delay_alu instid0(VALU_DEP_1) | instskip(SKIP_4) | instid1(VALU_DEP_4)
	v_add_f32_e32 v47, v15, v50
	v_mul_f32_e32 v15, 0x3f65296c, v78
	v_add_f32_e32 v50, v11, v54
	v_add_f32_e32 v45, v23, v82
	v_fmamk_f32 v11, v81, 0x3ee437d1, v38
	v_fma_f32 v52, 0x3ee437d1, v83, -v15
	v_mul_f32_e32 v23, 0xbf4c4adb, v7
	s_delay_alu instid0(VALU_DEP_3) | instskip(SKIP_1) | instid1(VALU_DEP_4)
	v_add_f32_e32 v53, v11, v74
	v_fma_f32 v11, 0x3ee437d1, v81, -v38
	v_add_f32_e32 v52, v52, v62
	s_delay_alu instid0(VALU_DEP_4) | instskip(SKIP_1) | instid1(VALU_DEP_4)
	v_fmamk_f32 v36, v81, 0xbf1a4643, v23
	v_fma_f32 v23, 0xbf1a4643, v81, -v23
	v_add_f32_e32 v55, v11, v61
	s_delay_alu instid0(VALU_DEP_3) | instskip(NEXT) | instid1(VALU_DEP_3)
	v_add_f32_e32 v49, v36, v75
	v_dual_add_f32 v51, v23, v60 :: v_dual_mul_f32 v36, 0xbf763a35, v7
	v_mul_f32_e32 v23, 0xbf763a35, v78
	v_mul_f32_e32 v7, 0x3f7ee86f, v7
	s_delay_alu instid0(VALU_DEP_3) | instskip(NEXT) | instid1(VALU_DEP_3)
	v_fma_f32 v11, 0xbe8c1d8e, v81, -v36
	v_fma_f32 v38, 0xbe8c1d8e, v83, -v23
	v_fmac_f32_e32 v23, 0xbe8c1d8e, v83
	s_delay_alu instid0(VALU_DEP_2) | instskip(SKIP_3) | instid1(VALU_DEP_2)
	v_dual_add_f32 v59, v11, v59 :: v_dual_add_f32 v56, v38, v76
	v_fmac_f32_e32 v15, 0x3ee437d1, v83
	s_wait_alu 0xf1ff
	v_cndmask_b32_e64 v11, 0, 0x1210, s1
	v_dual_add_f32 v54, v15, v57 :: v_dual_fmamk_f32 v15, v81, 0xbe8c1d8e, v36
	s_delay_alu instid0(VALU_DEP_2) | instskip(SKIP_1) | instid1(VALU_DEP_3)
	v_dual_fmamk_f32 v36, v81, 0x3dbcf732, v7 :: v_dual_add_nc_u32 v11, 0, v11
	v_fma_f32 v7, 0x3dbcf732, v81, -v7
	v_add_f32_e32 v57, v15, v58
	v_dual_mul_f32 v15, 0x3f7ee86f, v78 :: v_dual_add_f32 v58, v23, v77
	s_delay_alu instid0(VALU_DEP_4) | instskip(SKIP_2) | instid1(VALU_DEP_4)
	v_add3_u32 v2, v11, v2, v27
	v_add_f32_e32 v61, v36, v80
	v_add_f32_e32 v75, v7, v85
	v_fma_f32 v23, 0x3dbcf732, v83, -v15
	v_fmac_f32_e32 v15, 0x3dbcf732, v83
	s_delay_alu instid0(VALU_DEP_2) | instskip(NEXT) | instid1(VALU_DEP_2)
	v_dual_add_f32 v60, v23, v79 :: v_dual_add_nc_u32 v7, 0x800, v2
	v_add_f32_e32 v74, v15, v84
	ds_store_2addr_b64 v2, v[0:1], v[5:6] offset1:34
	ds_store_2addr_b64 v2, v[9:10], v[40:41] offset0:68 offset1:102
	ds_store_2addr_b64 v2, v[44:45], v[48:49] offset0:136 offset1:170
	;; [unrolled: 1-line block ×7, first 2 shown]
	ds_store_b64 v2, v[21:22] offset:4352
	global_wb scope:SCOPE_SE
	s_wait_dscnt 0x0
	s_barrier_signal -1
	s_barrier_wait -1
	global_inv scope:SCOPE_SE
	ds_load_2addr_b64 v[0:3], v3 offset0:66 offset1:134
	ds_load_2addr_b64 v[4:7], v4 offset0:74 offset1:142
	ds_load_b64 v[53:54], v64
	ds_load_b64 v[49:50], v73
	;; [unrolled: 1-line block ×4, first 2 shown]
	ds_load_2addr_b64 v[8:11], v8 offset0:82 offset1:150
	ds_load_2addr_b64 v[12:15], v12 offset0:90 offset1:158
	ds_load_b64 v[61:62], v70
	ds_load_b64 v[57:58], v69
	ds_load_b64 v[55:56], v68
	ds_load_b64 v[59:60], v67
	s_and_saveexec_b32 s1, s0
	s_cbranch_execz .LBB0_18
; %bb.17:
	ds_load_b64 v[21:22], v19
	ds_load_b64 v[16:17], v66 offset:8976
	v_mov_b32_e32 v18, v30
.LBB0_18:
	s_wait_alu 0xfffe
	s_or_b32 exec_lo, exec_lo, s1
	v_dual_mov_b32 v27, v20 :: v_dual_mov_b32 v38, v20
	v_mov_b32_e32 v40, v20
	v_mov_b32_e32 v36, v20
	s_delay_alu instid0(VALU_DEP_3) | instskip(NEXT) | instid1(VALU_DEP_4)
	v_lshlrev_b64_e32 v[41:42], 3, v[26:27]
	v_lshlrev_b64_e32 v[37:38], 3, v[37:38]
	s_delay_alu instid0(VALU_DEP_2) | instskip(SKIP_1) | instid1(VALU_DEP_3)
	v_add_co_u32 v45, s1, s8, v41
	s_wait_alu 0xf1ff
	v_add_co_ci_u32_e64 v46, s1, s9, v42, s1
	s_delay_alu instid0(VALU_DEP_3)
	v_add_co_u32 v43, s1, s8, v37
	v_lshlrev_b64_e32 v[36:37], 3, v[35:36]
	v_mov_b32_e32 v35, v20
	v_lshlrev_b64_e32 v[39:40], 3, v[39:40]
	s_wait_alu 0xf1ff
	v_add_co_ci_u32_e64 v44, s1, s9, v38, s1
	s_delay_alu instid0(VALU_DEP_3) | instskip(NEXT) | instid1(VALU_DEP_3)
	v_lshlrev_b64_e32 v[74:75], 3, v[34:35]
	v_add_co_u32 v41, s1, s8, v39
	s_wait_alu 0xf1ff
	v_add_co_ci_u32_e64 v42, s1, s9, v40, s1
	v_add_co_u32 v39, s1, s8, v36
	s_wait_alu 0xf1ff
	v_add_co_ci_u32_e64 v40, s1, s9, v37, s1
	;; [unrolled: 3-line block ×3, first 2 shown]
	s_clause 0x4
	global_load_b64 v[74:75], v[45:46], off offset:4488
	global_load_b64 v[76:77], v[43:44], off offset:4488
	global_load_b64 v[78:79], v[41:42], off offset:4488
	global_load_b64 v[80:81], v[39:40], off offset:4488
	global_load_b64 v[82:83], v[35:36], off offset:4488
	s_wait_loadcnt_dscnt 0x40b
	v_dual_mov_b32 v34, v20 :: v_dual_mul_f32 v23, v75, v1
	s_delay_alu instid0(VALU_DEP_1)
	v_lshlrev_b64_e32 v[37:38], 3, v[33:34]
	v_mov_b32_e32 v33, v20
	v_mul_f32_e32 v27, v75, v0
	s_wait_loadcnt_dscnt 0x20a
	v_dual_mul_f32 v75, v77, v3 :: v_dual_mul_f32 v88, v79, v5
	s_wait_loadcnt_dscnt 0x5
	v_dual_mul_f32 v77, v77, v2 :: v_dual_mul_f32 v90, v83, v9
	v_lshlrev_b64_e32 v[33:34], 3, v[32:33]
	v_mov_b32_e32 v32, v20
	v_add_co_u32 v37, s1, s8, v37
	s_wait_alu 0xf1ff
	v_add_co_ci_u32_e64 v38, s1, s9, v38, s1
	s_delay_alu instid0(VALU_DEP_3) | instskip(SKIP_4) | instid1(VALU_DEP_4)
	v_lshlrev_b64_e32 v[19:20], 3, v[31:32]
	v_add_co_u32 v33, s1, s8, v33
	s_wait_alu 0xf1ff
	v_add_co_ci_u32_e64 v34, s1, s9, v34, s1
	v_fma_f32 v0, v74, v0, -v23
	v_add_co_u32 v31, s1, s8, v19
	s_wait_alu 0xf1ff
	v_add_co_ci_u32_e64 v32, s1, s9, v20, s1
	s_clause 0x2
	global_load_b64 v[19:20], v[37:38], off offset:4488
	global_load_b64 v[84:85], v[33:34], off offset:4488
	;; [unrolled: 1-line block ×3, first 2 shown]
	v_mul_f32_e32 v79, v79, v4
	v_fma_f32 v4, v78, v4, -v88
	v_mul_f32_e32 v89, v81, v7
	v_mul_f32_e32 v83, v83, v8
	v_fma_f32 v2, v76, v2, -v75
	v_fma_f32 v8, v82, v8, -v90
	v_sub_f32_e32 v4, v47, v4
	global_wb scope:SCOPE_SE
	s_wait_loadcnt_dscnt 0x0
	s_barrier_signal -1
	s_barrier_wait -1
	global_inv scope:SCOPE_SE
	v_fma_f32 v47, v47, 2.0, -v4
	v_sub_f32_e32 v0, v53, v0
	v_sub_f32_e32 v2, v49, v2
	;; [unrolled: 1-line block ×3, first 2 shown]
	s_delay_alu instid0(VALU_DEP_2)
	v_fma_f32 v49, v49, 2.0, -v2
	v_dual_mul_f32 v91, v20, v11 :: v_dual_mul_f32 v92, v85, v13
	v_dual_mul_f32 v93, v15, v87 :: v_dual_mul_f32 v20, v20, v10
	v_mul_f32_e32 v81, v81, v6
	v_mul_f32_e32 v87, v14, v87
	v_fma_f32 v6, v80, v6, -v89
	v_mul_f32_e32 v85, v85, v12
	v_fma_f32 v10, v19, v10, -v91
	v_fmac_f32_e32 v27, v74, v1
	v_fma_f32 v12, v84, v12, -v92
	v_fmac_f32_e32 v77, v76, v3
	;; [unrolled: 2-line block ×3, first 2 shown]
	v_dual_fmac_f32 v83, v82, v9 :: v_dual_fmac_f32 v20, v19, v11
	s_delay_alu instid0(VALU_DEP_3)
	v_dual_fmac_f32 v81, v80, v7 :: v_dual_sub_f32 v14, v59, v14
	v_fmac_f32_e32 v87, v15, v86
	v_dual_sub_f32 v6, v51, v6 :: v_dual_fmac_f32 v85, v84, v13
	v_dual_sub_f32 v10, v57, v10 :: v_dual_sub_f32 v1, v54, v27
	v_dual_sub_f32 v12, v55, v12 :: v_dual_sub_f32 v3, v50, v77
	v_sub_f32_e32 v5, v48, v79
	v_sub_f32_e32 v7, v52, v81
	;; [unrolled: 1-line block ×6, first 2 shown]
	v_fma_f32 v19, v53, 2.0, -v0
	v_fma_f32 v20, v54, 2.0, -v1
	;; [unrolled: 1-line block ×14, first 2 shown]
	ds_store_b64 v66, v[19:20]
	ds_store_b64 v66, v[0:1] offset:4624
	ds_store_b64 v73, v[49:50]
	ds_store_b64 v73, v[2:3] offset:4624
	;; [unrolled: 2-line block ×8, first 2 shown]
	s_and_saveexec_b32 s4, s0
	s_cbranch_execz .LBB0_20
; %bb.19:
	v_mov_b32_e32 v19, 0
	s_delay_alu instid0(VALU_DEP_1) | instskip(NEXT) | instid1(VALU_DEP_1)
	v_lshlrev_b64_e32 v[0:1], 3, v[18:19]
	v_add_co_u32 v0, s1, s8, v0
	s_wait_alu 0xf1ff
	s_delay_alu instid0(VALU_DEP_2) | instskip(SKIP_4) | instid1(VALU_DEP_2)
	v_add_co_ci_u32_e64 v1, s1, s9, v1, s1
	global_load_b64 v[0:1], v[0:1], off offset:4488
	s_wait_loadcnt 0x0
	v_mul_f32_e32 v2, v16, v1
	v_mul_f32_e32 v1, v17, v1
	v_fmac_f32_e32 v2, v17, v0
	s_delay_alu instid0(VALU_DEP_2) | instskip(NEXT) | instid1(VALU_DEP_1)
	v_fma_f32 v0, v16, v0, -v1
	v_dual_sub_f32 v1, v22, v2 :: v_dual_sub_f32 v0, v21, v0
	s_delay_alu instid0(VALU_DEP_1) | instskip(NEXT) | instid1(VALU_DEP_2)
	v_fma_f32 v3, v22, 2.0, -v1
	v_fma_f32 v2, v21, 2.0, -v0
	ds_store_b64 v66, v[2:3] offset:4352
	ds_store_b64 v66, v[0:1] offset:8976
.LBB0_20:
	s_wait_alu 0xfffe
	s_or_b32 exec_lo, exec_lo, s4
	global_wb scope:SCOPE_SE
	s_wait_dscnt 0x0
	s_barrier_signal -1
	s_barrier_wait -1
	global_inv scope:SCOPE_SE
	ds_load_b64 v[2:3], v64
	v_sub_nc_u32_e32 v4, v63, v65
	v_cmp_ne_u32_e64 s1, 0, v26
                                        ; implicit-def: $vgpr1
                                        ; implicit-def: $vgpr5
	s_delay_alu instid0(VALU_DEP_1)
	s_and_saveexec_b32 s4, s1
	s_wait_alu 0xfffe
	s_xor_b32 s1, exec_lo, s4
	s_cbranch_execz .LBB0_22
; %bb.21:
	global_load_b64 v[6:7], v[45:46], off offset:9112
	ds_load_b64 v[0:1], v4 offset:9248
	s_wait_dscnt 0x0
	v_dual_sub_f32 v5, v2, v0 :: v_dual_add_f32 v8, v1, v3
	v_dual_sub_f32 v1, v3, v1 :: v_dual_add_f32 v0, v0, v2
	s_delay_alu instid0(VALU_DEP_2) | instskip(NEXT) | instid1(VALU_DEP_2)
	v_dual_mul_f32 v3, 0.5, v5 :: v_dual_mul_f32 v2, 0.5, v8
	v_mul_f32_e32 v1, 0.5, v1
	s_wait_loadcnt 0x0
	s_delay_alu instid0(VALU_DEP_2) | instskip(NEXT) | instid1(VALU_DEP_2)
	v_mul_f32_e32 v5, v7, v3
	v_fma_f32 v8, v2, v7, v1
	v_fma_f32 v1, v2, v7, -v1
	s_delay_alu instid0(VALU_DEP_3) | instskip(SKIP_1) | instid1(VALU_DEP_4)
	v_fma_f32 v9, 0.5, v0, v5
	v_fma_f32 v0, v0, 0.5, -v5
	v_fma_f32 v5, -v6, v3, v8
	s_delay_alu instid0(VALU_DEP_4) | instskip(NEXT) | instid1(VALU_DEP_4)
	v_fma_f32 v1, -v6, v3, v1
	v_fmac_f32_e32 v9, v6, v2
	s_delay_alu instid0(VALU_DEP_4)
	v_fma_f32 v0, -v6, v2, v0
                                        ; implicit-def: $vgpr2_vgpr3
	ds_store_b32 v64, v9
.LBB0_22:
	s_wait_alu 0xfffe
	s_and_not1_saveexec_b32 s1, s1
	s_cbranch_execz .LBB0_24
; %bb.23:
	ds_load_b32 v1, v63 offset:4628
	s_wait_dscnt 0x1
	v_dual_mov_b32 v5, 0 :: v_dual_add_f32 v6, v2, v3
	v_sub_f32_e32 v0, v2, v3
	s_wait_dscnt 0x0
	v_xor_b32_e32 v2, 0x80000000, v1
	s_delay_alu instid0(VALU_DEP_3)
	v_mov_b32_e32 v1, v5
	ds_store_b32 v64, v6
	ds_store_b32 v63, v2 offset:4628
.LBB0_24:
	s_wait_alu 0xfffe
	s_or_b32 exec_lo, exec_lo, s1
	s_wait_dscnt 0x0
	s_clause 0x5
	global_load_b64 v[2:3], v[43:44], off offset:9112
	global_load_b64 v[6:7], v[41:42], off offset:9112
	;; [unrolled: 1-line block ×6, first 2 shown]
	ds_store_b32 v64, v5 offset:4
	ds_store_b64 v4, v[0:1] offset:9248
	global_load_b64 v[0:1], v[31:32], off offset:9112
	ds_load_b64 v[16:17], v73
	ds_load_b64 v[18:19], v4 offset:8704
	s_wait_dscnt 0x0
	v_dual_sub_f32 v5, v16, v18 :: v_dual_add_f32 v20, v17, v19
	v_dual_sub_f32 v17, v17, v19 :: v_dual_add_f32 v18, v16, v18
	s_delay_alu instid0(VALU_DEP_2) | instskip(NEXT) | instid1(VALU_DEP_3)
	v_mul_f32_e32 v19, 0.5, v20
	v_mul_f32_e32 v5, 0.5, v5
	s_delay_alu instid0(VALU_DEP_3) | instskip(SKIP_1) | instid1(VALU_DEP_2)
	v_mul_f32_e32 v17, 0.5, v17
	s_wait_loadcnt 0x6
	v_mul_f32_e32 v20, v3, v5
	s_delay_alu instid0(VALU_DEP_2) | instskip(SKIP_1) | instid1(VALU_DEP_3)
	v_fma_f32 v21, v19, v3, v17
	v_fma_f32 v3, v19, v3, -v17
	v_fma_f32 v16, 0.5, v18, v20
	v_fma_f32 v18, v18, 0.5, -v20
	s_delay_alu instid0(VALU_DEP_2) | instskip(SKIP_2) | instid1(VALU_DEP_4)
	v_fmac_f32_e32 v16, v2, v19
	v_fma_f32 v17, -v2, v5, v21
	v_fma_f32 v3, -v2, v5, v3
	;; [unrolled: 1-line block ×3, first 2 shown]
	ds_store_b64 v73, v[16:17]
	ds_store_b64 v4, v[2:3] offset:8704
	ds_load_b64 v[2:3], v72
	ds_load_b64 v[16:17], v4 offset:8160
	s_wait_dscnt 0x0
	v_dual_sub_f32 v5, v2, v16 :: v_dual_add_f32 v18, v3, v17
	v_dual_sub_f32 v3, v3, v17 :: v_dual_add_f32 v16, v2, v16
	s_delay_alu instid0(VALU_DEP_2) | instskip(SKIP_1) | instid1(VALU_DEP_1)
	v_mul_f32_e32 v5, 0.5, v5
	s_wait_loadcnt 0x5
	v_dual_mul_f32 v17, 0.5, v18 :: v_dual_mul_f32 v18, v7, v5
	s_delay_alu instid0(VALU_DEP_1) | instskip(SKIP_2) | instid1(VALU_DEP_3)
	v_fma_f32 v2, 0.5, v16, v18
	v_mul_f32_e32 v3, 0.5, v3
	v_fma_f32 v16, v16, 0.5, -v18
	v_fmac_f32_e32 v2, v6, v17
	s_delay_alu instid0(VALU_DEP_3) | instskip(SKIP_1) | instid1(VALU_DEP_2)
	v_fma_f32 v19, v17, v7, v3
	v_fma_f32 v7, v17, v7, -v3
	v_fma_f32 v3, -v6, v5, v19
	s_delay_alu instid0(VALU_DEP_2)
	v_fma_f32 v7, -v6, v5, v7
	v_fma_f32 v6, -v6, v17, v16
	ds_store_b64 v72, v[2:3]
	ds_store_b64 v4, v[6:7] offset:8160
	ds_load_b64 v[2:3], v71
	ds_load_b64 v[5:6], v4 offset:7616
	s_wait_dscnt 0x0
	v_dual_sub_f32 v7, v2, v5 :: v_dual_add_f32 v16, v3, v6
	v_sub_f32_e32 v3, v3, v6
	s_delay_alu instid0(VALU_DEP_2) | instskip(SKIP_1) | instid1(VALU_DEP_1)
	v_dual_add_f32 v5, v2, v5 :: v_dual_mul_f32 v6, 0.5, v7
	s_wait_loadcnt 0x4
	v_dual_mul_f32 v7, 0.5, v16 :: v_dual_mul_f32 v16, v9, v6
	s_delay_alu instid0(VALU_DEP_1) | instskip(SKIP_1) | instid1(VALU_DEP_2)
	v_fma_f32 v2, 0.5, v5, v16
	v_fma_f32 v5, v5, 0.5, -v16
	v_fmac_f32_e32 v2, v8, v7
	v_mul_f32_e32 v3, 0.5, v3
	s_delay_alu instid0(VALU_DEP_3) | instskip(NEXT) | instid1(VALU_DEP_2)
	v_fma_f32 v5, -v8, v7, v5
	v_fma_f32 v17, v7, v9, v3
	v_fma_f32 v9, v7, v9, -v3
	s_delay_alu instid0(VALU_DEP_2) | instskip(NEXT) | instid1(VALU_DEP_2)
	v_fma_f32 v3, -v8, v6, v17
	v_fma_f32 v6, -v8, v6, v9
	ds_store_b64 v71, v[2:3]
	ds_store_b64 v4, v[5:6] offset:7616
	ds_load_b64 v[2:3], v70
	ds_load_b64 v[5:6], v4 offset:7072
	s_wait_dscnt 0x0
	v_dual_sub_f32 v7, v2, v5 :: v_dual_add_f32 v8, v3, v6
	v_sub_f32_e32 v3, v3, v6
	s_delay_alu instid0(VALU_DEP_2) | instskip(SKIP_1) | instid1(VALU_DEP_1)
	v_dual_add_f32 v5, v2, v5 :: v_dual_mul_f32 v6, 0.5, v7
	s_wait_loadcnt 0x3
	v_dual_mul_f32 v7, 0.5, v8 :: v_dual_mul_f32 v8, v11, v6
	s_delay_alu instid0(VALU_DEP_1) | instskip(SKIP_1) | instid1(VALU_DEP_2)
	v_fma_f32 v2, 0.5, v5, v8
	v_fma_f32 v5, v5, 0.5, -v8
	v_fmac_f32_e32 v2, v10, v7
	v_mul_f32_e32 v3, 0.5, v3
	s_delay_alu instid0(VALU_DEP_3) | instskip(NEXT) | instid1(VALU_DEP_2)
	v_fma_f32 v5, -v10, v7, v5
	v_fma_f32 v9, v7, v11, v3
	v_fma_f32 v11, v7, v11, -v3
	s_delay_alu instid0(VALU_DEP_2) | instskip(NEXT) | instid1(VALU_DEP_2)
	v_fma_f32 v3, -v10, v6, v9
	v_fma_f32 v6, -v10, v6, v11
	ds_store_b64 v70, v[2:3]
	ds_store_b64 v4, v[5:6] offset:7072
	ds_load_b64 v[2:3], v69
	ds_load_b64 v[5:6], v4 offset:6528
	s_wait_dscnt 0x0
	v_dual_sub_f32 v7, v2, v5 :: v_dual_add_f32 v8, v3, v6
	v_sub_f32_e32 v3, v3, v6
	s_delay_alu instid0(VALU_DEP_2) | instskip(SKIP_1) | instid1(VALU_DEP_1)
	v_dual_add_f32 v5, v2, v5 :: v_dual_mul_f32 v6, 0.5, v7
	s_wait_loadcnt 0x2
	v_dual_mul_f32 v7, 0.5, v8 :: v_dual_mul_f32 v8, v13, v6
	s_delay_alu instid0(VALU_DEP_1) | instskip(SKIP_1) | instid1(VALU_DEP_2)
	v_fma_f32 v2, 0.5, v5, v8
	v_fma_f32 v5, v5, 0.5, -v8
	v_fmac_f32_e32 v2, v12, v7
	v_mul_f32_e32 v3, 0.5, v3
	s_delay_alu instid0(VALU_DEP_3) | instskip(NEXT) | instid1(VALU_DEP_2)
	v_fma_f32 v5, -v12, v7, v5
	v_fma_f32 v9, v7, v13, v3
	v_fma_f32 v10, v7, v13, -v3
	s_delay_alu instid0(VALU_DEP_2) | instskip(NEXT) | instid1(VALU_DEP_2)
	v_fma_f32 v3, -v12, v6, v9
	v_fma_f32 v6, -v12, v6, v10
	ds_store_b64 v69, v[2:3]
	ds_store_b64 v4, v[5:6] offset:6528
	ds_load_b64 v[2:3], v68
	ds_load_b64 v[5:6], v4 offset:5984
	s_wait_dscnt 0x0
	v_dual_sub_f32 v7, v2, v5 :: v_dual_add_f32 v8, v3, v6
	v_sub_f32_e32 v3, v3, v6
	s_delay_alu instid0(VALU_DEP_2) | instskip(SKIP_1) | instid1(VALU_DEP_1)
	v_dual_add_f32 v5, v2, v5 :: v_dual_mul_f32 v6, 0.5, v7
	s_wait_loadcnt 0x1
	v_dual_mul_f32 v7, 0.5, v8 :: v_dual_mul_f32 v8, v15, v6
	s_delay_alu instid0(VALU_DEP_1) | instskip(SKIP_1) | instid1(VALU_DEP_2)
	v_fma_f32 v2, 0.5, v5, v8
	v_fma_f32 v5, v5, 0.5, -v8
	v_fmac_f32_e32 v2, v14, v7
	v_mul_f32_e32 v3, 0.5, v3
	s_delay_alu instid0(VALU_DEP_3) | instskip(NEXT) | instid1(VALU_DEP_2)
	v_fma_f32 v5, -v14, v7, v5
	v_fma_f32 v9, v7, v15, v3
	v_fma_f32 v10, v7, v15, -v3
	s_delay_alu instid0(VALU_DEP_2) | instskip(NEXT) | instid1(VALU_DEP_2)
	v_fma_f32 v3, -v14, v6, v9
	v_fma_f32 v6, -v14, v6, v10
	ds_store_b64 v68, v[2:3]
	ds_store_b64 v4, v[5:6] offset:5984
	ds_load_b64 v[2:3], v67
	ds_load_b64 v[5:6], v4 offset:5440
	s_wait_dscnt 0x0
	v_dual_sub_f32 v7, v2, v5 :: v_dual_add_f32 v8, v3, v6
	v_dual_sub_f32 v3, v3, v6 :: v_dual_add_f32 v2, v2, v5
	s_delay_alu instid0(VALU_DEP_2) | instskip(NEXT) | instid1(VALU_DEP_2)
	v_dual_mul_f32 v6, 0.5, v7 :: v_dual_mul_f32 v7, 0.5, v8
	v_mul_f32_e32 v3, 0.5, v3
	s_wait_loadcnt 0x0
	s_delay_alu instid0(VALU_DEP_2) | instskip(NEXT) | instid1(VALU_DEP_2)
	v_mul_f32_e32 v5, v1, v6
	v_fma_f32 v8, v7, v1, v3
	v_fma_f32 v3, v7, v1, -v3
	s_delay_alu instid0(VALU_DEP_3) | instskip(SKIP_1) | instid1(VALU_DEP_4)
	v_fma_f32 v1, 0.5, v2, v5
	v_fma_f32 v5, v2, 0.5, -v5
	v_fma_f32 v2, -v0, v6, v8
	s_delay_alu instid0(VALU_DEP_4) | instskip(NEXT) | instid1(VALU_DEP_4)
	v_fma_f32 v6, -v0, v6, v3
	v_fmac_f32_e32 v1, v0, v7
	s_delay_alu instid0(VALU_DEP_4)
	v_fma_f32 v5, -v0, v7, v5
	ds_store_b64 v67, v[1:2]
	ds_store_b64 v4, v[5:6] offset:5440
	s_and_saveexec_b32 s1, s0
	s_cbranch_execz .LBB0_26
; %bb.25:
	v_mov_b32_e32 v31, 0
	v_lshl_add_u32 v7, v30, 3, v63
	s_delay_alu instid0(VALU_DEP_2) | instskip(NEXT) | instid1(VALU_DEP_1)
	v_lshlrev_b64_e32 v[0:1], 3, v[30:31]
	v_add_co_u32 v0, s0, s8, v0
	s_wait_alu 0xf1ff
	s_delay_alu instid0(VALU_DEP_2)
	v_add_co_ci_u32_e64 v1, s0, s9, v1, s0
	global_load_b64 v[0:1], v[0:1], off offset:9112
	ds_load_b64 v[2:3], v7
	ds_load_b64 v[5:6], v4 offset:4896
	s_wait_dscnt 0x0
	v_dual_sub_f32 v8, v2, v5 :: v_dual_add_f32 v9, v3, v6
	v_dual_sub_f32 v3, v3, v6 :: v_dual_add_f32 v2, v2, v5
	s_delay_alu instid0(VALU_DEP_2) | instskip(NEXT) | instid1(VALU_DEP_2)
	v_mul_f32_e32 v6, 0.5, v8
	v_dual_mul_f32 v8, 0.5, v9 :: v_dual_mul_f32 v3, 0.5, v3
	s_wait_loadcnt 0x0
	s_delay_alu instid0(VALU_DEP_2) | instskip(NEXT) | instid1(VALU_DEP_2)
	v_mul_f32_e32 v5, v1, v6
	v_fma_f32 v9, v8, v1, v3
	v_fma_f32 v3, v8, v1, -v3
	s_delay_alu instid0(VALU_DEP_3) | instskip(SKIP_1) | instid1(VALU_DEP_4)
	v_fma_f32 v1, 0.5, v2, v5
	v_fma_f32 v5, v2, 0.5, -v5
	v_fma_f32 v2, -v0, v6, v9
	s_delay_alu instid0(VALU_DEP_4) | instskip(NEXT) | instid1(VALU_DEP_4)
	v_fma_f32 v6, -v0, v6, v3
	v_fmac_f32_e32 v1, v0, v8
	s_delay_alu instid0(VALU_DEP_4)
	v_fma_f32 v5, -v0, v8, v5
	ds_store_b64 v7, v[1:2]
	ds_store_b64 v4, v[5:6] offset:4896
.LBB0_26:
	s_wait_alu 0xfffe
	s_or_b32 exec_lo, exec_lo, s1
	global_wb scope:SCOPE_SE
	s_wait_dscnt 0x0
	s_barrier_signal -1
	s_barrier_wait -1
	global_inv scope:SCOPE_SE
	s_and_saveexec_b32 s0, vcc_lo
	s_cbranch_execz .LBB0_29
; %bb.27:
	v_mul_lo_u32 v3, s3, v28
	v_mul_lo_u32 v4, s2, v29
	v_mad_co_u64_u32 v[0:1], null, s2, v28, 0
	v_mov_b32_e32 v27, 0
	v_lshlrev_b64_e32 v[11:12], 3, v[24:25]
	v_lshl_add_u32 v2, v26, 3, v63
	v_add_nc_u32_e32 v15, 0x88, v26
	s_delay_alu instid0(VALU_DEP_4)
	v_dual_mov_b32 v14, v27 :: v_dual_add_nc_u32 v13, 0x44, v26
	v_add3_u32 v1, v1, v4, v3
	v_lshlrev_b64_e32 v[17:18], 3, v[26:27]
	v_mov_b32_e32 v16, v27
	ds_load_2addr_b64 v[3:6], v2 offset1:68
	ds_load_2addr_b64 v[7:10], v2 offset0:136 offset1:204
	v_lshlrev_b64_e32 v[0:1], 3, v[0:1]
	v_lshlrev_b64_e32 v[13:14], 3, v[13:14]
	v_dual_mov_b32 v20, v27 :: v_dual_add_nc_u32 v19, 0x110, v26
	v_add_nc_u32_e32 v21, 0x800, v2
	s_delay_alu instid0(VALU_DEP_4) | instskip(SKIP_2) | instid1(VALU_DEP_2)
	v_add_co_u32 v0, vcc_lo, s6, v0
	s_wait_alu 0xfffd
	v_add_co_ci_u32_e32 v1, vcc_lo, s7, v1, vcc_lo
	v_add_co_u32 v0, vcc_lo, v0, v11
	s_wait_alu 0xfffd
	s_delay_alu instid0(VALU_DEP_2) | instskip(SKIP_1) | instid1(VALU_DEP_3)
	v_add_co_ci_u32_e32 v1, vcc_lo, v1, v12, vcc_lo
	v_lshlrev_b64_e32 v[11:12], 3, v[15:16]
	v_add_co_u32 v15, vcc_lo, v0, v17
	s_wait_alu 0xfffd
	s_delay_alu instid0(VALU_DEP_3) | instskip(SKIP_4) | instid1(VALU_DEP_3)
	v_add_co_ci_u32_e32 v16, vcc_lo, v1, v18, vcc_lo
	v_dual_mov_b32 v18, v27 :: v_dual_add_nc_u32 v17, 0xcc, v26
	v_add_co_u32 v13, vcc_lo, v0, v13
	s_wait_alu 0xfffd
	v_add_co_ci_u32_e32 v14, vcc_lo, v1, v14, vcc_lo
	v_lshlrev_b64_e32 v[17:18], 3, v[17:18]
	v_add_co_u32 v11, vcc_lo, v0, v11
	s_wait_alu 0xfffd
	v_add_co_ci_u32_e32 v12, vcc_lo, v1, v12, vcc_lo
	s_delay_alu instid0(VALU_DEP_3)
	v_add_co_u32 v17, vcc_lo, v0, v17
	s_wait_alu 0xfffd
	v_add_co_ci_u32_e32 v18, vcc_lo, v1, v18, vcc_lo
	s_wait_dscnt 0x1
	s_clause 0x1
	global_store_b64 v[15:16], v[3:4], off
	global_store_b64 v[13:14], v[5:6], off
	s_wait_dscnt 0x0
	s_clause 0x1
	global_store_b64 v[11:12], v[7:8], off
	global_store_b64 v[17:18], v[9:10], off
	v_lshlrev_b64_e32 v[7:8], 3, v[19:20]
	v_dual_mov_b32 v12, v27 :: v_dual_add_nc_u32 v9, 0x154, v26
	v_mov_b32_e32 v10, v27
	ds_load_2addr_b64 v[3:6], v21 offset0:16 offset1:84
	v_dual_mov_b32 v18, v27 :: v_dual_add_nc_u32 v11, 0x198, v26
	v_add_co_u32 v13, vcc_lo, v0, v7
	s_wait_alu 0xfffd
	v_add_co_ci_u32_e32 v14, vcc_lo, v1, v8, vcc_lo
	v_lshlrev_b64_e32 v[15:16], 3, v[9:10]
	ds_load_2addr_b64 v[7:10], v21 offset0:152 offset1:220
	v_add_nc_u32_e32 v17, 0x1dc, v26
	v_lshlrev_b64_e32 v[11:12], 3, v[11:12]
	v_add_nc_u32_e32 v19, 0x220, v26
	v_add_nc_u32_e32 v21, 0x1000, v2
	v_add_co_u32 v15, vcc_lo, v0, v15
	v_lshlrev_b64_e32 v[17:18], 3, v[17:18]
	s_wait_alu 0xfffd
	v_add_co_ci_u32_e32 v16, vcc_lo, v1, v16, vcc_lo
	v_add_co_u32 v11, vcc_lo, v0, v11
	s_wait_alu 0xfffd
	v_add_co_ci_u32_e32 v12, vcc_lo, v1, v12, vcc_lo
	v_add_co_u32 v17, vcc_lo, v0, v17
	s_wait_alu 0xfffd
	v_add_co_ci_u32_e32 v18, vcc_lo, v1, v18, vcc_lo
	s_wait_dscnt 0x1
	s_clause 0x1
	global_store_b64 v[13:14], v[3:4], off
	global_store_b64 v[15:16], v[5:6], off
	s_wait_dscnt 0x0
	s_clause 0x1
	global_store_b64 v[11:12], v[7:8], off
	global_store_b64 v[17:18], v[9:10], off
	v_mov_b32_e32 v18, v27
	v_mov_b32_e32 v12, v27
	v_lshlrev_b64_e32 v[7:8], 3, v[19:20]
	v_dual_mov_b32 v10, v27 :: v_dual_add_nc_u32 v9, 0x264, v26
	ds_load_2addr_b64 v[3:6], v21 offset0:32 offset1:100
	v_add_nc_u32_e32 v11, 0x2a8, v26
	v_add_nc_u32_e32 v17, 0x2ec, v26
	v_add_co_u32 v13, vcc_lo, v0, v7
	s_wait_alu 0xfffd
	v_add_co_ci_u32_e32 v14, vcc_lo, v1, v8, vcc_lo
	v_lshlrev_b64_e32 v[15:16], 3, v[9:10]
	ds_load_2addr_b64 v[7:10], v21 offset0:168 offset1:236
	v_lshlrev_b64_e32 v[11:12], 3, v[11:12]
	v_lshlrev_b64_e32 v[17:18], 3, v[17:18]
	v_add_nc_u32_e32 v19, 0x330, v26
	v_add_nc_u32_e32 v21, 0x1800, v2
	v_add_co_u32 v15, vcc_lo, v0, v15
	s_wait_alu 0xfffd
	v_add_co_ci_u32_e32 v16, vcc_lo, v1, v16, vcc_lo
	v_add_co_u32 v11, vcc_lo, v0, v11
	s_wait_alu 0xfffd
	v_add_co_ci_u32_e32 v12, vcc_lo, v1, v12, vcc_lo
	;; [unrolled: 3-line block ×3, first 2 shown]
	s_wait_dscnt 0x1
	s_clause 0x1
	global_store_b64 v[13:14], v[3:4], off
	global_store_b64 v[15:16], v[5:6], off
	s_wait_dscnt 0x0
	s_clause 0x1
	global_store_b64 v[11:12], v[7:8], off
	global_store_b64 v[17:18], v[9:10], off
	v_dual_mov_b32 v8, v27 :: v_dual_add_nc_u32 v7, 0x374, v26
	v_lshlrev_b64_e32 v[19:20], 3, v[19:20]
	v_dual_mov_b32 v14, v27 :: v_dual_add_nc_u32 v13, 0x3b8, v26
	v_add_nc_u32_e32 v15, 0x3fc, v26
	s_delay_alu instid0(VALU_DEP_4)
	v_lshlrev_b64_e32 v[7:8], 3, v[7:8]
	v_mov_b32_e32 v16, v27
	v_add_co_u32 v11, vcc_lo, v0, v19
	s_wait_alu 0xfffd
	v_add_co_ci_u32_e32 v12, vcc_lo, v1, v20, vcc_lo
	v_mov_b32_e32 v20, v27
	ds_load_2addr_b64 v[3:6], v21 offset0:48 offset1:116
	v_add_co_u32 v17, vcc_lo, v0, v7
	v_lshlrev_b64_e32 v[13:14], 3, v[13:14]
	v_add_nc_u32_e32 v19, 0x440, v26
	s_wait_alu 0xfffd
	v_add_co_ci_u32_e32 v18, vcc_lo, v1, v8, vcc_lo
	ds_load_2addr_b64 v[7:10], v21 offset0:184 offset1:252
	v_lshlrev_b64_e32 v[15:16], 3, v[15:16]
	ds_load_b64 v[21:22], v2 offset:8704
	v_add_co_u32 v13, vcc_lo, v0, v13
	v_lshlrev_b64_e32 v[19:20], 3, v[19:20]
	s_wait_alu 0xfffd
	v_add_co_ci_u32_e32 v14, vcc_lo, v1, v14, vcc_lo
	v_add_co_u32 v15, vcc_lo, v0, v15
	s_wait_alu 0xfffd
	v_add_co_ci_u32_e32 v16, vcc_lo, v1, v16, vcc_lo
	v_add_co_u32 v19, vcc_lo, v0, v19
	s_wait_alu 0xfffd
	v_add_co_ci_u32_e32 v20, vcc_lo, v1, v20, vcc_lo
	v_cmp_eq_u32_e32 vcc_lo, 0x43, v26
	s_wait_dscnt 0x2
	s_clause 0x1
	global_store_b64 v[11:12], v[3:4], off
	global_store_b64 v[17:18], v[5:6], off
	s_wait_dscnt 0x1
	s_clause 0x1
	global_store_b64 v[13:14], v[7:8], off
	global_store_b64 v[15:16], v[9:10], off
	s_wait_dscnt 0x0
	global_store_b64 v[19:20], v[21:22], off
	s_and_b32 exec_lo, exec_lo, vcc_lo
	s_cbranch_execz .LBB0_29
; %bb.28:
	ds_load_b64 v[2:3], v2 offset:8712
	s_wait_dscnt 0x0
	global_store_b64 v[0:1], v[2:3], off offset:9248
.LBB0_29:
	s_nop 0
	s_sendmsg sendmsg(MSG_DEALLOC_VGPRS)
	s_endpgm
	.section	.rodata,"a",@progbits
	.p2align	6, 0x0
	.amdhsa_kernel fft_rtc_fwd_len1156_factors_17_2_17_2_wgs_204_tpt_68_halfLds_sp_op_CI_CI_unitstride_sbrr_R2C_dirReg
		.amdhsa_group_segment_fixed_size 0
		.amdhsa_private_segment_fixed_size 0
		.amdhsa_kernarg_size 104
		.amdhsa_user_sgpr_count 2
		.amdhsa_user_sgpr_dispatch_ptr 0
		.amdhsa_user_sgpr_queue_ptr 0
		.amdhsa_user_sgpr_kernarg_segment_ptr 1
		.amdhsa_user_sgpr_dispatch_id 0
		.amdhsa_user_sgpr_private_segment_size 0
		.amdhsa_wavefront_size32 1
		.amdhsa_uses_dynamic_stack 0
		.amdhsa_enable_private_segment 0
		.amdhsa_system_sgpr_workgroup_id_x 1
		.amdhsa_system_sgpr_workgroup_id_y 0
		.amdhsa_system_sgpr_workgroup_id_z 0
		.amdhsa_system_sgpr_workgroup_info 0
		.amdhsa_system_vgpr_workitem_id 0
		.amdhsa_next_free_vgpr 177
		.amdhsa_next_free_sgpr 39
		.amdhsa_reserve_vcc 1
		.amdhsa_float_round_mode_32 0
		.amdhsa_float_round_mode_16_64 0
		.amdhsa_float_denorm_mode_32 3
		.amdhsa_float_denorm_mode_16_64 3
		.amdhsa_fp16_overflow 0
		.amdhsa_workgroup_processor_mode 1
		.amdhsa_memory_ordered 1
		.amdhsa_forward_progress 0
		.amdhsa_round_robin_scheduling 0
		.amdhsa_exception_fp_ieee_invalid_op 0
		.amdhsa_exception_fp_denorm_src 0
		.amdhsa_exception_fp_ieee_div_zero 0
		.amdhsa_exception_fp_ieee_overflow 0
		.amdhsa_exception_fp_ieee_underflow 0
		.amdhsa_exception_fp_ieee_inexact 0
		.amdhsa_exception_int_div_zero 0
	.end_amdhsa_kernel
	.text
.Lfunc_end0:
	.size	fft_rtc_fwd_len1156_factors_17_2_17_2_wgs_204_tpt_68_halfLds_sp_op_CI_CI_unitstride_sbrr_R2C_dirReg, .Lfunc_end0-fft_rtc_fwd_len1156_factors_17_2_17_2_wgs_204_tpt_68_halfLds_sp_op_CI_CI_unitstride_sbrr_R2C_dirReg
                                        ; -- End function
	.section	.AMDGPU.csdata,"",@progbits
; Kernel info:
; codeLenInByte = 19056
; NumSgprs: 41
; NumVgprs: 177
; ScratchSize: 0
; MemoryBound: 0
; FloatMode: 240
; IeeeMode: 1
; LDSByteSize: 0 bytes/workgroup (compile time only)
; SGPRBlocks: 5
; VGPRBlocks: 22
; NumSGPRsForWavesPerEU: 41
; NumVGPRsForWavesPerEU: 177
; Occupancy: 8
; WaveLimiterHint : 1
; COMPUTE_PGM_RSRC2:SCRATCH_EN: 0
; COMPUTE_PGM_RSRC2:USER_SGPR: 2
; COMPUTE_PGM_RSRC2:TRAP_HANDLER: 0
; COMPUTE_PGM_RSRC2:TGID_X_EN: 1
; COMPUTE_PGM_RSRC2:TGID_Y_EN: 0
; COMPUTE_PGM_RSRC2:TGID_Z_EN: 0
; COMPUTE_PGM_RSRC2:TIDIG_COMP_CNT: 0
	.text
	.p2alignl 7, 3214868480
	.fill 96, 4, 3214868480
	.type	__hip_cuid_729e7d65e093e175,@object ; @__hip_cuid_729e7d65e093e175
	.section	.bss,"aw",@nobits
	.globl	__hip_cuid_729e7d65e093e175
__hip_cuid_729e7d65e093e175:
	.byte	0                               ; 0x0
	.size	__hip_cuid_729e7d65e093e175, 1

	.ident	"AMD clang version 19.0.0git (https://github.com/RadeonOpenCompute/llvm-project roc-6.4.0 25133 c7fe45cf4b819c5991fe208aaa96edf142730f1d)"
	.section	".note.GNU-stack","",@progbits
	.addrsig
	.addrsig_sym __hip_cuid_729e7d65e093e175
	.amdgpu_metadata
---
amdhsa.kernels:
  - .args:
      - .actual_access:  read_only
        .address_space:  global
        .offset:         0
        .size:           8
        .value_kind:     global_buffer
      - .offset:         8
        .size:           8
        .value_kind:     by_value
      - .actual_access:  read_only
        .address_space:  global
        .offset:         16
        .size:           8
        .value_kind:     global_buffer
      - .actual_access:  read_only
        .address_space:  global
        .offset:         24
        .size:           8
        .value_kind:     global_buffer
      - .actual_access:  read_only
        .address_space:  global
        .offset:         32
        .size:           8
        .value_kind:     global_buffer
      - .offset:         40
        .size:           8
        .value_kind:     by_value
      - .actual_access:  read_only
        .address_space:  global
        .offset:         48
        .size:           8
        .value_kind:     global_buffer
      - .actual_access:  read_only
        .address_space:  global
        .offset:         56
        .size:           8
        .value_kind:     global_buffer
      - .offset:         64
        .size:           4
        .value_kind:     by_value
      - .actual_access:  read_only
        .address_space:  global
        .offset:         72
        .size:           8
        .value_kind:     global_buffer
      - .actual_access:  read_only
        .address_space:  global
        .offset:         80
        .size:           8
        .value_kind:     global_buffer
      - .actual_access:  read_only
        .address_space:  global
        .offset:         88
        .size:           8
        .value_kind:     global_buffer
      - .actual_access:  write_only
        .address_space:  global
        .offset:         96
        .size:           8
        .value_kind:     global_buffer
    .group_segment_fixed_size: 0
    .kernarg_segment_align: 8
    .kernarg_segment_size: 104
    .language:       OpenCL C
    .language_version:
      - 2
      - 0
    .max_flat_workgroup_size: 204
    .name:           fft_rtc_fwd_len1156_factors_17_2_17_2_wgs_204_tpt_68_halfLds_sp_op_CI_CI_unitstride_sbrr_R2C_dirReg
    .private_segment_fixed_size: 0
    .sgpr_count:     41
    .sgpr_spill_count: 0
    .symbol:         fft_rtc_fwd_len1156_factors_17_2_17_2_wgs_204_tpt_68_halfLds_sp_op_CI_CI_unitstride_sbrr_R2C_dirReg.kd
    .uniform_work_group_size: 1
    .uses_dynamic_stack: false
    .vgpr_count:     177
    .vgpr_spill_count: 0
    .wavefront_size: 32
    .workgroup_processor_mode: 1
amdhsa.target:   amdgcn-amd-amdhsa--gfx1201
amdhsa.version:
  - 1
  - 2
...

	.end_amdgpu_metadata
